;; amdgpu-corpus repo=ROCm/aiter kind=harvested arch=n/a opt=n/a

/root/src/amdgpu-assembly/repos/ROCm__aiter/hsa/gfx942/fmha_v3_bwd/bwd_hd128_bf16_causal_br_a32_rtna_pssk_group.co:	file format elf64-amdgpu

Disassembly of section .text:

0000000000003e00 <_ZN5aiter49fmha_bwd_hd128_bf16_causal_br_a32_rtna_pssk_groupE>:
	s_and_b32 s1, s1, 0xffff                                   // 000000003E00: 8601FF01 0000FFFF
	s_load_dwordx2 s[32:33], s[0:1], 0x0                       // 000000003E08: C0060800 00000000
	s_load_dwordx2 s[36:37], s[0:1], 0x10                      // 000000003E10: C0060900 00000010
	s_load_dwordx2 s[40:41], s[0:1], 0x20                      // 000000003E18: C0060A00 00000020
	s_load_dwordx2 s[8:9], s[0:1], 0x30                        // 000000003E20: C0060200 00000030
	s_load_dwordx2 s[12:13], s[0:1], 0x40                      // 000000003E28: C0060300 00000040
	s_load_dwordx2 s[16:17], s[0:1], 0x50                      // 000000003E30: C0060400 00000050
	s_load_dwordx2 s[20:21], s[0:1], 0x60                      // 000000003E38: C0060500 00000060
	s_load_dwordx2 s[24:25], s[0:1], 0x70                      // 000000003E40: C0060600 00000070
	s_load_dwordx2 s[28:29], s[0:1], 0x80                      // 000000003E48: C0060700 00000080
	s_load_dword s47, s[0:1], 0x90                             // 000000003E50: C0020BC0 00000090
	s_load_dword s48, s[0:1], 0xa0                             // 000000003E58: C0020C00 000000A0
	s_load_dword s78, s[0:1], 0xd0                             // 000000003E60: C0021380 000000D0
	s_load_dword s5, s[0:1], 0xf0                              // 000000003E68: C0020140 000000F0
	s_load_dword s44, s[0:1], 0x100                            // 000000003E70: C0020B00 00000100
	s_load_dword s79, s[0:1], 0x110                            // 000000003E78: C00213C0 00000110
	s_load_dword s6, s[0:1], 0x130                             // 000000003E80: C0020180 00000130
	s_load_dword s52, s[0:1], 0x140                            // 000000003E88: C0020D00 00000140
	s_load_dword s50, s[0:1], 0x160                            // 000000003E90: C0020C80 00000160
	s_load_dword s80, s[0:1], 0x190                            // 000000003E98: C0021400 00000190
	s_load_dword s7, s[0:1], 0x1b0                             // 000000003EA0: C00201C0 000001B0
	s_load_dword s81, s[0:1], 0x1c0                            // 000000003EA8: C0021440 000001C0
	s_load_dword s51, s[0:1], 0x1e0                            // 000000003EB0: C0020CC0 000001E0
	s_load_dword s82, s[0:1], 0x1f0                            // 000000003EB8: C0021480 000001F0
	s_load_dword s83, s[0:1], 0x210                            // 000000003EC0: C00214C0 00000210
	s_load_dword s53, s[0:1], 0x230                            // 000000003EC8: C0020D40 00000230
	s_load_dword s49, s[0:1], 0x240                            // 000000003ED0: C0020C40 00000240
	s_load_dwordx2 s[88:89], s[0:1], 0x250                     // 000000003ED8: C0061600 00000250
	s_load_dwordx2 s[92:93], s[0:1], 0x260                     // 000000003EE0: C0061700 00000260
	s_load_dwordx2 s[96:97], s[0:1], 0x270                     // 000000003EE8: C0061800 00000270
	s_load_dwordx2 s[100:101], s[0:1], 0x280                   // 000000003EF0: C0061900 00000280
	v_lshrrev_b32_e32 v1, 10, v0                               // 000000003EF8: 2002008A
	v_lshrrev_b32_e32 v2, 10, v1                               // 000000003EFC: 2004028A
	v_and_b32_e32 v2, 0x3ff, v2                                // 000000003F00: 260404FF 000003FF
	v_and_b32_e32 v1, 0x3ff, v1                                // 000000003F08: 260202FF 000003FF
	v_and_b32_e32 v0, 0x3ff, v0                                // 000000003F10: 260000FF 000003FF
	v_lshrrev_b32_e32 v3, 6, v0                                // 000000003F18: 20060086
	v_and_b32_e32 v0, 63, v0                                   // 000000003F1C: 260000BF
	s_mov_b32 s2, s2                                           // 000000003F20: BE820002
	s_mov_b32 s3, s3                                           // 000000003F24: BE830003
	s_mov_b32 s4, s4                                           // 000000003F28: BE840004
	v_readfirstlane_b32 s46, v3                                // 000000003F2C: 7E5C0503
	s_waitcnt lgkmcnt(0)                                       // 000000003F30: BF8CC07F
	s_mul_i32 s60, s4, 4                                       // 000000003F34: 923C8404
	s_add_u32 s88, s60, s88                                    // 000000003F38: 8058583C
	s_addc_u32 s89, 0, s89                                     // 000000003F3C: 82595980
	s_load_dwordx2 s[84:85], s[88:89], 0x0                     // 000000003F40: C006152C 00000000
	s_add_u32 s96, s60, s96                                    // 000000003F48: 8060603C
	s_addc_u32 s97, 0, s97                                     // 000000003F4C: 82616180
	s_load_dword s90, s[96:97], 0x0                            // 000000003F50: C00216B0 00000000
	s_add_u32 s92, s60, s92                                    // 000000003F58: 805C5C3C
	s_addc_u32 s93, 0, s93                                     // 000000003F5C: 825D5D80
	s_load_dwordx2 s[86:87], s[92:93], 0x0                     // 000000003F60: C00615AE 00000000
	s_add_u32 s100, s60, s100                                  // 000000003F68: 8064643C
	s_addc_u32 s101, 0, s101                                   // 000000003F6C: 82656580
	s_load_dword s94, s[100:101], 0x0                          // 000000003F70: C00217B2 00000000
	s_mov_b32 s11, 0x20000                                     // 000000003F78: BE8B00FF 00020000
	s_mov_b32 s15, 0x20000                                     // 000000003F80: BE8F00FF 00020000
	s_mov_b32 s19, 0x20000                                     // 000000003F88: BE9300FF 00020000
	s_mov_b32 s23, 0x20000                                     // 000000003F90: BE9700FF 00020000
	s_mov_b32 s27, 0x20000                                     // 000000003F98: BE9B00FF 00020000
	s_mov_b32 s31, 0x20000                                     // 000000003FA0: BE9F00FF 00020000
	s_mov_b32 s35, 0x20000                                     // 000000003FA8: BEA300FF 00020000
	s_mov_b32 s39, 0x20000                                     // 000000003FB0: BEA700FF 00020000
	s_mov_b32 s43, 0x20000                                     // 000000003FB8: BEAB00FF 00020000
	s_and_b32 s9, s9, 0xffff                                   // 000000003FC0: 8609FF09 0000FFFF
	s_and_b32 s13, s13, 0xffff                                 // 000000003FC8: 860DFF0D 0000FFFF
	s_and_b32 s17, s17, 0xffff                                 // 000000003FD0: 8611FF11 0000FFFF
	s_and_b32 s21, s21, 0xffff                                 // 000000003FD8: 8615FF15 0000FFFF
	s_and_b32 s25, s25, 0xffff                                 // 000000003FE0: 8619FF19 0000FFFF
	s_and_b32 s29, s29, 0xffff                                 // 000000003FE8: 861DFF1D 0000FFFF
	s_and_b32 s33, s33, 0xffff                                 // 000000003FF0: 8621FF21 0000FFFF
	s_and_b32 s37, s37, 0xffff                                 // 000000003FF8: 8625FF25 0000FFFF
	s_and_b32 s41, s41, 0xffff                                 // 000000004000: 8629FF29 0000FFFF
	s_or_b32 s9, s9, 0x40000                                   // 000000004008: 8709FF09 00040000
	s_or_b32 s13, s13, 0x40000                                 // 000000004010: 870DFF0D 00040000
	s_or_b32 s17, s17, 0x40000                                 // 000000004018: 8711FF11 00040000
	s_or_b32 s21, s21, 0x40000                                 // 000000004020: 8715FF15 00040000
	s_or_b32 s25, s25, 0x40000                                 // 000000004028: 8719FF19 00040000
	s_or_b32 s29, s29, 0x40000                                 // 000000004030: 871DFF1D 00040000
	s_or_b32 s33, s33, 0x40000                                 // 000000004038: 8721FF21 00040000
	s_or_b32 s37, s37, 0x40000                                 // 000000004040: 8725FF25 00040000
	s_or_b32 s41, s41, 0x40000                                 // 000000004048: 8729FF29 00040000
	v_accvgpr_write_b32 a255, 0                                // 000000004050: D3D940FF 18000080
	v_mov_b32_e32 v255, 0                                      // 000000004058: 7FFE0280
	s_mov_b32 s71, s3                                          // 00000000405C: BEC70003
	v_cvt_f32_u32_e32 v28, s44                                 // 000000004060: 7E380C2C
	s_sub_i32 s60, 0, s44                                      // 000000004064: 81BC2C80
	v_rcp_iflag_f32_e32 v28, v28                               // 000000004068: 7E38471C
	s_nop 0                                                    // 00000000406C: BF800000
	v_mul_f32_e32 v28, 0x4f7ffffe, v28                         // 000000004070: 0A3838FF 4F7FFFFE
	v_cvt_u32_f32_e32 v28, v28                                 // 000000004078: 7E380F1C
	v_mul_lo_u32 v29, s60, v28                                 // 00000000407C: D285001D 0002383C
	v_mul_hi_u32 v29, v28, v29                                 // 000000004084: D286001D 00023B1C
	v_add_u32_e32 v28, v28, v29                                // 00000000408C: 68383B1C
	v_mul_hi_u32 v28, s71, v28                                 // 000000004090: D286001C 00023847
	v_mul_lo_u32 v29, v28, s44                                 // 000000004098: D285001D 0000591C
	v_sub_u32_e32 v31, s71, v29                                // 0000000040A0: 6A3E3A47
	v_add_u32_e32 v30, 1, v28                                  // 0000000040A4: 683C3881
	v_cmp_le_u32_e32 vcc, s44, v31                             // 0000000040A8: 7D963E2C
	v_subrev_u32_e32 v29, s44, v31                             // 0000000040AC: 6C3A3E2C
	s_nop 0                                                    // 0000000040B0: BF800000
	v_cndmask_b32_e32 v28, v28, v30, vcc                       // 0000000040B4: 00383D1C
	v_cndmask_b32_e32 v31, v31, v29, vcc                       // 0000000040B8: 003E3B1F
	v_add_u32_e32 v29, 1, v28                                  // 0000000040BC: 683A3881
	v_cmp_le_u32_e32 vcc, s44, v31                             // 0000000040C0: 7D963E2C
	s_nop 1                                                    // 0000000040C4: BF800001
	v_cndmask_b32_e32 v31, v28, v29, vcc                       // 0000000040C8: 003E3B1C
	s_nop 3                                                    // 0000000040CC: BF800003
	v_readfirstlane_b32 s45, v31                               // 0000000040D0: 7E5A051F
	s_nop 3                                                    // 0000000040D4: BF800003
	s_waitcnt lgkmcnt(0)                                       // 0000000040D8: BF8CC07F
	s_mul_i32 s61, s2, 0x180                                   // 0000000040DC: 923DFF02 00000180
	s_sub_i32 s87, s87, s86                                    // 0000000040E4: 81D75657
	s_mov_b32 s86, s94                                         // 0000000040E8: BED6005E
	s_sub_i32 s85, s85, s84                                    // 0000000040EC: 81D55455
	s_mov_b32 s84, s90                                         // 0000000040F0: BED4005A
	s_cmp_gt_i32 s85, 0                                        // 0000000040F4: BF028055
	s_cbranch_scc0 label_205D                                  // 0000000040F8: BF841F8A
	s_mov_b32 s59, 0                                           // 0000000040FC: BEBB0080
	s_mov_b32 s58, s85                                         // 000000004100: BEBA0055
	s_cmp_ge_i32 s61, s87                                      // 000000004104: BF03573D
	s_cbranch_scc1 label_205D                                  // 000000004108: BF851F86
	s_mul_i32 s61, s45, s79                                    // 00000000410C: 923D4F2D
	s_mov_b32 s54, s61                                         // 000000004110: BEB6003D
	s_add_u32 s12, s54, s12                                    // 000000004114: 800C0C36
	s_addc_u32 s13, 0, s13                                     // 000000004118: 820D0D80
	s_mul_i32 s60, s86, s6                                     // 00000000411C: 923C0656
	s_mul_hi_u32 s61, s86, s6                                  // 000000004120: 963D0656
	s_and_b32 s61, s61, 0xffff                                 // 000000004124: 863DFF3D 0000FFFF
	s_add_u32 s12, s12, s60                                    // 00000000412C: 800C3C0C
	s_addc_u32 s13, s13, s61                                   // 000000004130: 820D3D0D
	s_mul_i32 s61, s45, s80                                    // 000000004134: 923D502D
	s_mov_b32 s54, s61                                         // 000000004138: BEB6003D
	s_add_u32 s16, s54, s16                                    // 00000000413C: 80101036
	s_addc_u32 s17, 0, s17                                     // 000000004140: 82111180
	s_mul_i32 s60, s86, s7                                     // 000000004144: 923C0756
	s_mul_hi_u32 s61, s86, s7                                  // 000000004148: 963D0756
	s_and_b32 s61, s61, 0xffff                                 // 00000000414C: 863DFF3D 0000FFFF
	s_add_u32 s16, s16, s60                                    // 000000004154: 80103C10
	s_addc_u32 s17, s17, s61                                   // 000000004158: 82113D11
	s_mul_i32 s61, s3, s78                                     // 00000000415C: 923D4E03
	s_mov_b32 s55, s61                                         // 000000004160: BEB7003D
	s_add_u32 s8, s55, s8                                      // 000000004164: 80080837
	s_addc_u32 s9, 0, s9                                       // 000000004168: 82090980
	s_mul_i32 s60, s84, s5                                     // 00000000416C: 923C0554
	s_mul_hi_u32 s61, s84, s5                                  // 000000004170: 963D0554
	s_and_b32 s61, s61, 0xffff                                 // 000000004174: 863DFF3D 0000FFFF
	s_add_u32 s8, s8, s60                                      // 00000000417C: 80083C08
	s_addc_u32 s9, s9, s61                                     // 000000004180: 82093D09
	s_mul_i32 s61, s3, s81                                     // 000000004184: 923D5103
	s_mov_b32 s56, s61                                         // 000000004188: BEB8003D
	s_add_u32 s20, s56, s20                                    // 00000000418C: 80141438
	s_addc_u32 s21, 0, s21                                     // 000000004190: 82151580
	s_mul_i32 s60, s84, s51                                    // 000000004194: 923C3354
	s_mul_hi_u32 s61, s84, s51                                 // 000000004198: 963D3354
	s_and_b32 s61, s61, 0xffff                                 // 00000000419C: 863DFF3D 0000FFFF
	s_add_u32 s20, s20, s60                                    // 0000000041A4: 80143C14
	s_addc_u32 s21, s21, s61                                   // 0000000041A8: 82153D15
	s_mul_i32 s62, 4, s84                                      // 0000000041AC: 923E5484
	s_mul_i32 s61, s3, s49                                     // 0000000041B0: 923D3103
	s_add_u32 s65, s61, s62                                    // 0000000041B4: 80413E3D
	s_mov_b32 s26, s85                                         // 0000000041B8: BE9A0055
	s_mov_b32 s30, s85                                         // 0000000041BC: BE9E0055
	s_add_u32 s24, s65, s24                                    // 0000000041C0: 80181841
	s_addc_u32 s25, 0, s25                                     // 0000000041C4: 82191980
	s_add_u32 s28, s65, s28                                    // 0000000041C8: 801C1C41
	s_addc_u32 s29, 0, s29                                     // 0000000041CC: 821D1D80
	s_mul_i32 s61, s3, s82                                     // 0000000041D0: 923D5203
	s_mul_i32 s62, s86, s52                                    // 0000000041D4: 923E3456
	s_add_u32 s60, s61, s62                                    // 0000000041D8: 803C3E3D
	s_mul_hi_u32 s61, s86, s52                                 // 0000000041DC: 963D3456
	s_and_b32 s61, s61, 0xffff                                 // 0000000041E0: 863DFF3D 0000FFFF
	s_add_u32 s36, s60, s36                                    // 0000000041E8: 8024243C
	s_addc_u32 s37, s61, s37                                   // 0000000041EC: 8225253D
	s_mul_i32 s60, s87, s52                                    // 0000000041F0: 923C3457
	s_lshr_b32 s60, s60, 2                                     // 0000000041F4: 8F3C823C
	s_mov_b32 s38, s60                                         // 0000000041F8: BEA6003C
	s_mul_i32 s61, s3, s83                                     // 0000000041FC: 923D5303
	s_mul_i32 s62, s86, s53                                    // 000000004200: 923E3556
	s_add_u32 s60, s61, s62                                    // 000000004204: 803C3E3D
	s_mul_hi_u32 s61, s86, s53                                 // 000000004208: 963D3556
	s_and_b32 s61, s61, 0xffff                                 // 00000000420C: 863DFF3D 0000FFFF
	s_add_u32 s40, s60, s40                                    // 000000004214: 8028283C
	s_addc_u32 s41, s61, s41                                   // 000000004218: 8229293D
	s_mul_i32 s60, s87, s53                                    // 00000000421C: 923C3557
	s_lshr_b32 s60, s60, 2                                     // 000000004220: 8F3C823C
	s_mov_b32 s42, s60                                         // 000000004224: BEAA003C
	s_mul_i32 s60, s50, s65                                    // 000000004228: 923C4132
	s_mul_hi_u32 s62, s50, s65                                 // 00000000422C: 963E4132
	s_and_b32 s62, s62, 0xffff                                 // 000000004230: 863EFF3E 0000FFFF
	s_add_u32 s32, s60, s32                                    // 000000004238: 8020203C
	s_addc_u32 s33, s62, s33                                   // 00000000423C: 8221213E
	s_mul_i32 s60, s50, s85                                    // 000000004240: 923C5532
	s_lshl_b32 s60, s60, 2                                     // 000000004244: 8E3C823C
	s_mov_b32 s34, s60                                         // 000000004248: BEA2003C
	s_mov_b32 s90, s8                                          // 00000000424C: BEDA0008
	s_mov_b32 s94, s12                                         // 000000004250: BEDE000C
	s_mov_b32 s96, s16                                         // 000000004254: BEE00010
	s_mov_b32 s98, s20                                         // 000000004258: BEE20014
	s_mov_b32 s91, s9                                          // 00000000425C: BEDB0009
	s_mov_b32 s95, s13                                         // 000000004260: BEDF000D
	s_mov_b32 s97, s17                                         // 000000004264: BEE10011
	s_mov_b32 s99, s21                                         // 000000004268: BEE30015
	s_add_u32 s71, 0xbf, s87                                   // 00000000426C: 804757FF 000000BF
	s_mov_b32 s74, 0xc0                                        // 000000004274: BECA00FF 000000C0
	v_cvt_f32_u32_e32 v28, s74                                 // 00000000427C: 7E380C4A
	s_sub_i32 s60, 0, s74                                      // 000000004280: 81BC4A80
	v_rcp_iflag_f32_e32 v28, v28                               // 000000004284: 7E38471C
	s_nop 0                                                    // 000000004288: BF800000
	v_mul_f32_e32 v28, 0x4f7ffffe, v28                         // 00000000428C: 0A3838FF 4F7FFFFE
	v_cvt_u32_f32_e32 v28, v28                                 // 000000004294: 7E380F1C
	v_mul_lo_u32 v29, s60, v28                                 // 000000004298: D285001D 0002383C
	v_mul_hi_u32 v29, v28, v29                                 // 0000000042A0: D286001D 00023B1C
	v_add_u32_e32 v28, v28, v29                                // 0000000042A8: 68383B1C
	v_mul_hi_u32 v28, s71, v28                                 // 0000000042AC: D286001C 00023847
	v_mul_lo_u32 v29, v28, s74                                 // 0000000042B4: D285001D 0000951C
	v_sub_u32_e32 v31, s71, v29                                // 0000000042BC: 6A3E3A47
	v_add_u32_e32 v30, 1, v28                                  // 0000000042C0: 683C3881
	v_cmp_le_u32_e32 vcc, s74, v31                             // 0000000042C4: 7D963E4A
	v_subrev_u32_e32 v29, s74, v31                             // 0000000042C8: 6C3A3E4A
	s_nop 0                                                    // 0000000042CC: BF800000
	v_cndmask_b32_e32 v28, v28, v30, vcc                       // 0000000042D0: 00383D1C
	v_cndmask_b32_e32 v31, v31, v29, vcc                       // 0000000042D4: 003E3B1F
	v_add_u32_e32 v29, 1, v28                                  // 0000000042D8: 683A3881
	v_cmp_le_u32_e32 vcc, s74, v31                             // 0000000042DC: 7D963E4A
	s_nop 1                                                    // 0000000042E0: BF800001
	v_cndmask_b32_e32 v31, v28, v29, vcc                       // 0000000042E4: 003E3B1C
	s_nop 3                                                    // 0000000042E8: BF800003
	v_readfirstlane_b32 s77, v31                               // 0000000042EC: 7E9A051F
	s_nop 3                                                    // 0000000042F0: BF800003
	v_mov_b32_e32 v28, s47                                     // 0000000042F4: 7E38022F
	v_mul_f32_e32 v28, s48, v28                                // 0000000042F8: 0A383830
	s_mov_b32 s63, 0x5040100                                   // 0000000042FC: BEBF00FF 05040100
	s_mov_b32 s64, 0x7060302                                   // 000000004304: BEC000FF 07060302
	v_readfirstlane_b32 s57, v28                               // 00000000430C: 7E72051C
	v_mov_b32_e32 v30, 0x3020706                               // 000000004310: 7E3C02FF 03020706
	v_mov_b32_e32 v28, s63                                     // 000000004318: 7E38023F
	v_and_b32_e32 v29, 1, v0                                   // 00000000431C: 263A0081
	v_cmp_eq_u32_e32 vcc, 1, v29                               // 000000004320: 7D943A81
	s_mul_i32 s60, s50, 64                                     // 000000004324: 923CC032
	s_mov_b32 s67, s60                                         // 000000004328: BEC3003C
	v_cndmask_b32_e32 v15, v28, v30, vcc                       // 00000000432C: 001E3D1C
	v_mov_b32_e32 v249, 0xffff0000                             // 000000004330: 7FF202FF FFFF0000
	v_mov_b32_e32 v250, 0x7fff0000                             // 000000004338: 7FF402FF 7FFF0000
	v_mov_b32_e32 v251, 0x7fff                                 // 000000004340: 7FF602FF 00007FFF
	s_cmp_lt_u32 s46, 2                                        // 000000004348: BF0A822E
	s_cselect_b32 s24, s24, s28                                // 00000000434C: 85181C18
	s_cselect_b32 s25, s25, s29                                // 000000004350: 85191D19
	s_cselect_b32 s26, s26, s30                                // 000000004354: 851A1E1A
	s_cselect_b32 s27, s27, s31                                // 000000004358: 851B1F1B
	s_lshr_b32 s60, s46, 1                                     // 00000000435C: 8F3C812E
	s_lshl_b32 s60, s60, 8                                     // 000000004360: 8E3C883C
	s_add_u32 s80, 0xc600, s60                                 // 000000004364: 80503CFF 0000C600
	s_add_u32 s81, 0x200, s80                                  // 00000000436C: 805150FF 00000200
	s_mov_b32 s75, 0                                           // 000000004374: BECB0080
	s_mov_b32 s76, 1                                           // 000000004378: BECC0081
	s_lshl_b32 s60, s2, 1                                      // 00000000437C: 8E3C8102
	s_add_u32 s60, 1, s60                                      // 000000004380: 803C3C81
	s_cmp_ge_i32 s60, s77                                      // 000000004384: BF034D3C
	s_cselect_b32 s76, s76, 2                                  // 000000004388: 854C824C

000000000000438c <label_0163>:
	s_mov_b32 m0, s80                                          // 00000000438C: BEFC0050
	s_mov_b32 s66, 0                                           // 000000004390: BEC20080
	v_mov_b32_e32 v151, 0xff800000                             // 000000004394: 7F2E02FF FF800000
	s_mov_b32 s74, 0                                           // 00000000439C: BECA0080
	s_mul_i32 s68, 4, s5                                       // 0000000043A0: 92440584
	s_mul_i32 s100, 4, s51                                     // 0000000043A4: 92643384
	s_mov_b32 s69, 16                                          // 0000000043A8: BEC50090
	s_mul_i32 s89, 0xc0, s2                                    // 0000000043AC: 925902FF 000000C0
	s_sub_i32 s60, s87, s85                                    // 0000000043B4: 81BC5557
	s_sub_i32 s71, s89, s60                                    // 0000000043B8: 81C73C59
	s_cmp_ge_i32 s71, 0                                        // 0000000043BC: BF038047
	s_cselect_b32 s59, s71, 0                                  // 0000000043C0: 853B8047
	s_add_i32 s60, s71, 0xc0                                   // 0000000043C4: 813CFF47 000000C0
	s_cmp_le_i32 s60, 0                                        // 0000000043CC: BF05803C
	s_cbranch_scc0 label_0177                                  // 0000000043D0: BF840002
	s_mov_b32 s88, 0                                           // 0000000043D4: BED80080
	s_branch label_0183                                        // 0000000043D8: BF82000C

00000000000043dc <label_0177>:
	s_mov_b32 s88, 1                                           // 0000000043DC: BED80081
	s_sub_i32 s60, s59, s71                                    // 0000000043E0: 81BC473B
	v_lshrrev_b32_e32 v28, 4, v0                               // 0000000043E4: 20380084
	v_mul_i32_i24_e32 v28, 4, v28                              // 0000000043E8: 0C383884
	v_add_i32 v28, v28, s60                                    // 0000000043EC: D29C001C 0000791C
	v_and_b32_e32 v29, 15, v0                                  // 0000000043F4: 263A008F
	v_mul_i32_i24_e64 v30, s46, 16                             // 0000000043F8: D106001E 0001202E
	v_add_u32_e32 v29, v29, v30                                // 000000004400: 683A3D1D
	v_sub_i32 v25, v29, v28                                    // 000000004404: D29D0019 0002391D

000000000000440c <label_0183>:
	s_mul_i32 s54, s6, s89                                     // 00000000440C: 92365906
	s_sub_i32 s61, s87, s89                                    // 000000004410: 81BD5957
	s_mul_i32 s62, s6, s61                                     // 000000004414: 923E3D06
	s_lshr_b32 s62, s62, 2                                     // 000000004418: 8F3E823E
	s_mov_b32 s14, s62                                         // 00000000441C: BE8E003E
	s_add_u32 s12, s54, s94                                    // 000000004420: 800C5E36
	s_addc_u32 s13, 0, s95                                     // 000000004424: 820D5F80
	s_mul_i32 s54, s7, s89                                     // 000000004428: 92365907
	s_mul_i32 s62, s7, s61                                     // 00000000442C: 923E3D07
	s_lshr_b32 s62, s62, 2                                     // 000000004430: 8F3E823E
	s_mov_b32 s18, s62                                         // 000000004434: BE92003E
	s_add_u32 s16, s54, s96                                    // 000000004438: 80106036
	s_addc_u32 s17, 0, s97                                     // 00000000443C: 82116180
	s_mov_b32 s71, s6                                          // 000000004440: BEC70006
	v_lshrrev_b32_e32 v28, 4, v0                               // 000000004444: 20380084
	v_and_b32_e32 v29, 1, v28                                  // 000000004448: 263A3881
	v_lshlrev_b32_e32 v29, 1, v29                              // 00000000444C: 243A3A81
	v_mul_i32_i24_e32 v29, s71, v29                            // 000000004450: 0C3A3A47
	v_and_b32_e32 v30, 2, v28                                  // 000000004454: 263C3882
	v_lshlrev_b32_e32 v30, 5, v30                              // 000000004458: 243C3C85
	v_add_u32_e32 v29, v30, v29                                // 00000000445C: 683A3B1E
	v_and_b32_e32 v28, 15, v0                                  // 000000004460: 2638008F
	v_lshlrev_b32_e32 v28, 2, v28                              // 000000004464: 24383882
	v_add_u32_e32 v1, v28, v29                                 // 000000004468: 68023B1C
	s_and_b32 s60, 1, s46                                      // 00000000446C: 863C2E81
	s_mul_i32 s60, s60, s71                                    // 000000004470: 923C473C
	s_mul_i32 s60, s60, 8                                      // 000000004474: 923C883C
	s_lshr_b32 s61, s46, 1                                     // 000000004478: 8F3D812E
	s_mul_i32 s61, s61, 0x80                                   // 00000000447C: 923DFF3D 00000080
	s_add_u32 s60, s60, s61                                    // 000000004484: 803C3D3C
	v_add_u32_e32 v1, s60, v1                                  // 000000004488: 6802023C
	v_add_u32_e32 v2, s71, v1                                  // 00000000448C: 68040247
	s_mul_i32 s60, 4, s71                                      // 000000004490: 923C4784
	v_add_u32_e32 v3, s60, v1                                  // 000000004494: 6806023C
	v_add_u32_e32 v4, s60, v2                                  // 000000004498: 6808043C
	s_mov_b32 s71, s7                                          // 00000000449C: BEC70007
	v_lshrrev_b32_e32 v28, 4, v0                               // 0000000044A0: 20380084
	v_and_b32_e32 v29, 1, v28                                  // 0000000044A4: 263A3881
	v_lshlrev_b32_e32 v29, 1, v29                              // 0000000044A8: 243A3A81
	v_mul_i32_i24_e32 v29, s71, v29                            // 0000000044AC: 0C3A3A47
	v_and_b32_e32 v30, 2, v28                                  // 0000000044B0: 263C3882
	v_lshlrev_b32_e32 v30, 5, v30                              // 0000000044B4: 243C3C85
	v_add_u32_e32 v29, v30, v29                                // 0000000044B8: 683A3B1E
	v_and_b32_e32 v28, 15, v0                                  // 0000000044BC: 2638008F
	v_lshlrev_b32_e32 v28, 2, v28                              // 0000000044C0: 24383882
	v_add_u32_e32 v252, v28, v29                               // 0000000044C4: 69F83B1C
	s_and_b32 s60, 1, s46                                      // 0000000044C8: 863C2E81
	s_mul_i32 s60, s60, s71                                    // 0000000044CC: 923C473C
	s_mul_i32 s60, s60, 8                                      // 0000000044D0: 923C883C
	s_lshr_b32 s61, s46, 1                                     // 0000000044D4: 8F3D812E
	s_mul_i32 s61, s61, 0x80                                   // 0000000044D8: 923DFF3D 00000080
	s_add_u32 s60, s60, s61                                    // 0000000044E0: 803C3D3C
	v_add_u32_e32 v252, s60, v252                              // 0000000044E4: 69F9F83C
	v_add_u32_e32 v253, s71, v252                              // 0000000044E8: 69FBF847
	s_mul_i32 s60, 4, s71                                      // 0000000044EC: 923C4784
	v_add_u32_e32 v254, s60, v252                              // 0000000044F0: 69FDF83C
	v_add_u32_e32 v255, s60, v253                              // 0000000044F4: 69FFFA3C
	v_lshrrev_b32_e32 v1, 2, v1                                // 0000000044F8: 20020282
	v_lshrrev_b32_e32 v2, 2, v2                                // 0000000044FC: 20040482
	v_lshrrev_b32_e32 v3, 2, v3                                // 000000004500: 20060682
	v_lshrrev_b32_e32 v4, 2, v4                                // 000000004504: 20080882
	v_lshrrev_b32_e32 v252, 2, v252                            // 000000004508: 21F9F882
	v_lshrrev_b32_e32 v253, 2, v253                            // 00000000450C: 21FBFA82
	v_lshrrev_b32_e32 v254, 2, v254                            // 000000004510: 21FDFC82
	v_lshrrev_b32_e32 v255, 2, v255                            // 000000004514: 21FFFE82
	s_mov_b32 s70, s52                                         // 000000004518: BEC60034
	v_lshrrev_b32_e32 v28, 4, v0                               // 00000000451C: 20380084
	v_mul_i32_i24_e32 v5, s70, v28                             // 000000004520: 0C0A3846
	v_lshrrev_b32_e32 v5, 2, v5                                // 000000004524: 200A0A82
	v_and_b32_e32 v28, 15, v0                                  // 000000004528: 2638008F
	v_lshlrev_b32_e32 v29, 2, v28                              // 00000000452C: 243A3882
	v_add_u32_e32 v5, v29, v5                                  // 000000004530: 680A0B1D
	s_mul_i32 s60, 16, s70                                     // 000000004534: 923C4690
	s_mul_i32 s60, s46, s60                                    // 000000004538: 923C3C2E
	v_lshlrev_b32_e32 v5, 2, v5                                // 00000000453C: 240A0A82
	v_add_u32_e32 v5, s60, v5                                  // 000000004540: 680A0A3C
	s_mul_i32 s60, s52, s89                                    // 000000004544: 923C5934
	v_add_u32_e32 v5, s60, v5                                  // 000000004548: 680A0A3C
	v_lshrrev_b32_e32 v5, 2, v5                                // 00000000454C: 200A0A82
	s_mov_b32 s70, s53                                         // 000000004550: BEC60035
	v_lshrrev_b32_e32 v28, 4, v0                               // 000000004554: 20380084
	v_mul_i32_i24_e32 v6, s70, v28                             // 000000004558: 0C0C3846
	v_lshrrev_b32_e32 v6, 2, v6                                // 00000000455C: 200C0C82
	v_and_b32_e32 v28, 15, v0                                  // 000000004560: 2638008F
	v_lshlrev_b32_e32 v29, 2, v28                              // 000000004564: 243A3882
	v_add_u32_e32 v6, v29, v6                                  // 000000004568: 680C0D1D
	s_mul_i32 s60, 16, s70                                     // 00000000456C: 923C4690
	s_mul_i32 s60, s46, s60                                    // 000000004570: 923C3C2E
	v_lshlrev_b32_e32 v6, 2, v6                                // 000000004574: 240C0C82
	v_add_u32_e32 v6, s60, v6                                  // 000000004578: 680C0C3C
	s_mul_i32 s60, s53, s89                                    // 00000000457C: 923C5935
	v_add_u32_e32 v6, s60, v6                                  // 000000004580: 680C0C3C
	v_lshrrev_b32_e32 v6, 2, v6                                // 000000004584: 200C0C82
	s_cmp_ge_i32 s59, s85                                      // 000000004588: BF03553B
	s_cselect_b32 s59, s85, s59                                // 00000000458C: 853B3B55
	s_add_u32 s73, 16, s59                                     // 000000004590: 80493B90
	s_mul_i32 s55, s5, s59                                     // 000000004594: 92373B05
	s_sub_i32 s61, s85, s59                                    // 000000004598: 81BD3B55
	s_mul_i32 s62, s5, s61                                     // 00000000459C: 923E3D05
	s_lshr_b32 s62, s62, 2                                     // 0000000045A0: 8F3E823E
	s_mov_b32 s10, s62                                         // 0000000045A4: BE8A003E
	s_add_u32 s8, s55, s90                                     // 0000000045A8: 80085A37
	s_addc_u32 s9, 0, s91                                      // 0000000045AC: 82095B80
	s_mul_i32 s56, s51, s59                                    // 0000000045B0: 92383B33
	s_mul_i32 s62, s51, s61                                    // 0000000045B4: 923E3D33
	s_lshr_b32 s62, s62, 2                                     // 0000000045B8: 8F3E823E
	s_mov_b32 s22, s62                                         // 0000000045BC: BE96003E
	s_add_u32 s20, s56, s98                                    // 0000000045C0: 80146238
	s_addc_u32 s21, 0, s99                                     // 0000000045C4: 82156380
	s_mul_i32 s65, s59, 4                                      // 0000000045C8: 9241843B
	v_and_b32_e32 v9, 15, v0                                   // 0000000045CC: 2612008F
	v_lshlrev_b32_e32 v9, 2, v9                                // 0000000045D0: 24121282
	v_add_u32_e32 v9, s65, v9                                  // 0000000045D4: 68121241
	v_lshrrev_b32_e32 v9, 2, v9                                // 0000000045D8: 20121282
	v_lshrrev_b32_e32 v28, 5, v0                               // 0000000045DC: 20380085
	v_mul_i32_i24_e64 v29, s50, 2                              // 0000000045E0: D106001D 00010432
	v_mul_i32_i24_e32 v7, v29, v28                             // 0000000045E8: 0C0E391D
	v_and_b32_e32 v28, 31, v0                                  // 0000000045EC: 2638009F
	v_add_u32_e32 v7, v28, v7                                  // 0000000045F0: 680E0F1C
	s_mul_i32 s60, 4, s50                                      // 0000000045F4: 923C3284
	s_mul_i32 s60, s46, s60                                    // 0000000045F8: 923C3C2E
	v_add_u32_e32 v7, s60, v7                                  // 0000000045FC: 680E0E3C
	v_lshlrev_b32_e32 v7, 2, v7                                // 000000004600: 240E0E82
	v_mul_i32_i24_e32 v29, 2, v29                              // 000000004604: 0C3A3A82
	v_add_u32_e32 v8, v29, v7                                  // 000000004608: 68100F1D
	s_mul_i32 s60, s50, s65                                    // 00000000460C: 923C4132
	v_add_u32_e32 v7, s60, v7                                  // 000000004610: 680E0E3C
	v_add_u32_e32 v8, s60, v8                                  // 000000004614: 6810103C
	s_mul_i32 s60, 3, s2                                       // 000000004618: 923C0283
	s_add_u32 s61, s87, 63                                     // 00000000461C: 803DBF57
	s_lshr_b32 s61, s61, 6                                     // 000000004620: 8F3D863D
	s_sub_i32 s72, s61, s60                                    // 000000004624: 81C83C3D
	s_cmp_lt_i32 s72, 3                                        // 000000004628: BF048348
	s_cselect_b32 s72, s72, 3                                  // 00000000462C: 85488348
	s_mul_i32 s60, 0xc0, s2                                    // 000000004630: 923C02FF 000000C0
	s_sub_i32 s84, s87, s60                                    // 000000004638: 81D43C57
	v_and_b32_e32 v28, 31, v0                                  // 00000000463C: 2638009F
	v_lshrrev_b32_e32 v28, 1, v28                              // 000000004640: 20383881
	v_and_b32_e32 v29, 1, v28                                  // 000000004644: 263A3881
	v_lshlrev_b32_e32 v29, 4, v29                              // 000000004648: 243A3A84
	v_and_b32_e32 v30, 2, v28                                  // 00000000464C: 263C3882
	v_lshlrev_b32_e32 v30, 2, v30                              // 000000004650: 243C3C82
	v_add_u32_e32 v29, v30, v29                                // 000000004654: 683A3B1E
	v_and_b32_e32 v30, 12, v28                                 // 000000004658: 263C388C
	v_lshrrev_b32_e32 v30, 1, v30                              // 00000000465C: 203C3C81
	v_add_u32_e32 v29, v30, v29                                // 000000004660: 683A3B1E
	v_lshrrev_b32_e32 v28, 5, v0                               // 000000004664: 20380085
	v_mul_i32_i24_e32 v30, 0x80, v28                           // 000000004668: 0C3C38FF 00000080
	v_add_u32_e32 v29, v30, v29                                // 000000004670: 683A3B1E
	v_and_b32_e32 v30, 1, v0                                   // 000000004674: 263C0081
	v_add_u32_e32 v11, v30, v29                                // 000000004678: 68163B1E
	s_and_b32 s60, 1, s46                                      // 00000000467C: 863C2E81
	s_mul_i32 s60, s60, 64                                     // 000000004680: 923CC03C
	s_lshr_b32 s61, s46, 1                                     // 000000004684: 8F3D812E
	s_mul_i32 s61, s61, 0x220                                  // 000000004688: 923DFF3D 00000220
	s_add_u32 s60, s60, s61                                    // 000000004690: 803C3D3C
	v_add_u32_e32 v11, s60, v11                                // 000000004694: 6816163C
	v_lshlrev_b32_e32 v11, 2, v11                              // 000000004698: 24161682
	v_lshrrev_b32_e32 v28, 4, v0                               // 00000000469C: 20380084
	v_and_b32_e32 v29, 1, v28                                  // 0000000046A0: 263A3881
	v_lshlrev_b32_e32 v29, 4, v29                              // 0000000046A4: 243A3A84
	v_and_b32_e32 v30, 2, v28                                  // 0000000046A8: 263C3882
	v_mul_i32_i24_e32 v30, 4, v30                              // 0000000046AC: 0C3C3C84
	v_add_u32_e32 v29, v30, v29                                // 0000000046B0: 683A3B1E
	v_and_b32_e32 v28, 15, v0                                  // 0000000046B4: 2638008F
	v_lshrrev_b32_e32 v30, 2, v28                              // 0000000046B8: 203C3882
	v_lshlrev_b32_e32 v30, 5, v30                              // 0000000046BC: 243C3C85
	v_add_u32_e32 v29, v30, v29                                // 0000000046C0: 683A3B1E
	v_and_b32_e32 v28, 3, v0                                   // 0000000046C4: 26380083
	v_and_b32_e32 v30, 1, v28                                  // 0000000046C8: 263C3881
	v_mul_i32_i24_e32 v30, 0x108, v30                          // 0000000046CC: 0C3C3CFF 00000108
	v_add_u32_e32 v29, v30, v29                                // 0000000046D4: 683A3B1E
	v_and_b32_e32 v30, 2, v28                                  // 0000000046D8: 263C3882
	v_lshlrev_b32_e32 v30, 1, v30                              // 0000000046DC: 243C3C81
	v_add_u32_e32 v10, v30, v29                                // 0000000046E0: 68143B1E
	v_lshlrev_b32_e32 v10, 2, v10                              // 0000000046E4: 24141482
	s_mul_i32 s60, s46, 0x1100                                 // 0000000046E8: 923CFF2E 00001100
	v_add_u32_e32 v22, s60, v10                                // 0000000046F0: 682C143C
	v_lshrrev_b32_e32 v28, 5, v0                               // 0000000046F4: 20380085
	v_mul_i32_i24_e32 v13, 0x80, v28                           // 0000000046F8: 0C1A38FF 00000080
	v_and_b32_e32 v28, 31, v0                                  // 000000004700: 2638009F
	v_and_b32_e32 v29, 7, v28                                  // 000000004704: 263A3887
	v_and_b32_e32 v30, 1, v29                                  // 000000004708: 263C3A81
	v_lshlrev_b32_e32 v30, 2, v30                              // 00000000470C: 243C3C82
	v_add_u32_e32 v13, v30, v13                                // 000000004710: 681A1B1E
	v_and_b32_e32 v30, 2, v29                                  // 000000004714: 263C3A82
	v_lshlrev_b32_e32 v30, 3, v30                              // 000000004718: 243C3C83
	v_add_u32_e32 v13, v30, v13                                // 00000000471C: 681A1B1E
	v_and_b32_e32 v30, 4, v29                                  // 000000004720: 263C3A84
	v_lshlrev_b32_e32 v30, 1, v30                              // 000000004724: 243C3C81
	v_add_u32_e32 v13, v30, v13                                // 000000004728: 681A1B1E
	v_lshrrev_b32_e32 v29, 3, v28                              // 00000000472C: 203A3883
	v_and_b32_e32 v30, 1, v29                                  // 000000004730: 263C3A81
	v_lshlrev_b32_e32 v30, 1, v30                              // 000000004734: 243C3C81
	v_add_u32_e32 v13, v30, v13                                // 000000004738: 681A1B1E
	v_and_b32_e32 v30, 2, v29                                  // 00000000473C: 263C3A82
	v_lshrrev_b32_e32 v30, 1, v30                              // 000000004740: 203C3C81
	v_add_u32_e32 v13, v30, v13                                // 000000004744: 681A1B1E
	s_and_b32 s60, 1, s46                                      // 000000004748: 863C2E81
	s_mul_i32 s60, s60, 64                                     // 00000000474C: 923CC03C
	s_lshr_b32 s61, s46, 1                                     // 000000004750: 8F3D812E
	s_mul_i32 s61, s61, 0x220                                  // 000000004754: 923DFF3D 00000220
	s_add_u32 s60, s60, s61                                    // 00000000475C: 803C3D3C
	v_add_u32_e32 v13, s60, v13                                // 000000004760: 681A1A3C
	v_lshlrev_b32_e32 v13, 2, v13                              // 000000004764: 241A1A82
	v_and_b32_e32 v28, 15, v0                                  // 000000004768: 2638008F
	v_and_b32_e32 v30, 1, v28                                  // 00000000476C: 263C3881
	v_mul_i32_i24_e32 v12, 0x108, v30                          // 000000004770: 0C183CFF 00000108
	v_and_b32_e32 v30, 2, v28                                  // 000000004778: 263C3882
	v_lshlrev_b32_e32 v30, 1, v30                              // 00000000477C: 243C3C81
	v_add_u32_e32 v12, v30, v12                                // 000000004780: 6818191E
	v_and_b32_e32 v30, 4, v28                                  // 000000004784: 263C3884
	v_lshlrev_b32_e32 v30, 2, v30                              // 000000004788: 243C3C82
	v_add_u32_e32 v12, v30, v12                                // 00000000478C: 6818191E
	v_and_b32_e32 v30, 8, v28                                  // 000000004790: 263C3888
	v_add_u32_e32 v12, v30, v12                                // 000000004794: 6818191E
	v_lshrrev_b32_e32 v28, 4, v0                               // 000000004798: 20380084
	v_and_b32_e32 v30, 1, v28                                  // 00000000479C: 263C3881
	v_lshlrev_b32_e32 v30, 5, v30                              // 0000000047A0: 243C3C85
	v_add_u32_e32 v12, v30, v12                                // 0000000047A4: 6818191E
	v_and_b32_e32 v29, 2, v28                                  // 0000000047A8: 263A3882
	v_mul_i32_i24_e32 v30, 32, v29                             // 0000000047AC: 0C3C3AA0
	v_mul_i32_i24_e32 v29, 0x220, v29                          // 0000000047B0: 0C3A3AFF 00000220
	v_add_u32_e32 v23, v29, v12                                // 0000000047B8: 682E191D
	v_add_u32_e32 v12, v30, v12                                // 0000000047BC: 6818191E
	v_lshlrev_b32_e32 v12, 2, v12                              // 0000000047C0: 24181882
	v_lshlrev_b32_e32 v23, 2, v23                              // 0000000047C4: 242E2E82
	s_and_b32 s60, 1, s46                                      // 0000000047C8: 863C2E81
	s_mul_i32 s60, s60, 0x200                                  // 0000000047CC: 923CFF3C 00000200
	s_lshr_b32 s61, s46, 1                                     // 0000000047D4: 8F3D812E
	s_mul_i32 s61, s61, 0x880                                  // 0000000047D8: 923DFF3D 00000880
	s_add_u32 s60, s60, s61                                    // 0000000047E0: 803C3D3C
	v_add_u32_e32 v23, s60, v23                                // 0000000047E4: 682E2E3C
	v_lshrrev_b32_e32 v28, 4, v0                               // 0000000047E8: 20380084
	v_mul_i32_i24_e32 v21, 4, v28                              // 0000000047EC: 0C2A3884
	v_and_b32_e32 v29, 3, v0                                   // 0000000047F0: 263A0083
	v_add_u32_e32 v21, v29, v21                                // 0000000047F4: 682A2B1D
	v_lshlrev_b32_e32 v21, 2, v21                              // 0000000047F8: 242A2A82
	v_lshrrev_b32_e32 v28, 4, v0                               // 0000000047FC: 20380084
	v_and_b32_e32 v29, 1, v28                                  // 000000004800: 263A3881
	v_mul_i32_i24_e32 v19, 0x100, v29                          // 000000004804: 0C263AFF 00000100
	v_and_b32_e32 v29, 2, v28                                  // 00000000480C: 263A3882
	v_mul_i32_i24_e32 v29, 64, v29                             // 000000004810: 0C3A3AC0
	v_add_u32_e32 v19, v29, v19                                // 000000004814: 6826271D
	v_and_b32_e32 v28, 15, v0                                  // 000000004818: 2638008F
	v_mul_i32_i24_e32 v29, 2, v28                              // 00000000481C: 0C3A3882
	v_add_u32_e32 v19, v29, v19                                // 000000004820: 6826271D
	s_mul_i32 s60, s46, 32                                     // 000000004824: 923CA02E
	v_add_u32_e32 v19, s60, v19                                // 000000004828: 6826263C
	v_lshlrev_b32_e32 v19, 2, v19                              // 00000000482C: 24262682
	v_lshlrev_b32_e32 v20, 1, v0                               // 000000004830: 24280081
	s_mul_i32 s60, s46, 0x200                                  // 000000004834: 923CFF2E 00000200
	v_add_u32_e32 v20, s60, v20                                // 00000000483C: 6828283C
	v_lshlrev_b32_e32 v20, 2, v20                              // 000000004840: 24282882
	v_lshrrev_b32_e32 v28, 5, v0                               // 000000004844: 20380085
	v_mul_i32_i24_e32 v17, 64, v28                             // 000000004848: 0C2238C0
	v_and_b32_e32 v28, 31, v0                                  // 00000000484C: 2638009F
	v_and_b32_e32 v28, 3, v28                                  // 000000004850: 26383883
	v_and_b32_e32 v29, 1, v28                                  // 000000004854: 263A3881
	v_mul_i32_i24_e32 v29, 4, v29                              // 000000004858: 0C3A3A84
	v_add_u32_e32 v17, v29, v17                                // 00000000485C: 6822231D
	v_and_b32_e32 v29, 2, v28                                  // 000000004860: 263A3882
	v_mul_i32_i24_e32 v29, 0x44, v29                           // 000000004864: 0C3A3AFF 00000044
	v_add_u32_e32 v17, v29, v17                                // 00000000486C: 6822231D
	v_and_b32_e32 v28, 31, v0                                  // 000000004870: 2638009F
	v_lshrrev_b32_e32 v28, 2, v28                              // 000000004874: 20383882
	v_lshrrev_b32_e32 v30, 2, v28                              // 000000004878: 203C3882
	v_mul_i32_i24_e32 v29, 16, v30                             // 00000000487C: 0C3A3C90
	v_add_u32_e32 v17, v29, v17                                // 000000004880: 6822231D
	v_and_b32_e32 v29, 2, v28                                  // 000000004884: 263A3882
	v_lshlrev_b32_e32 v29, 4, v29                              // 000000004888: 243A3A84
	v_add_u32_e32 v17, v29, v17                                // 00000000488C: 6822231D
	v_and_b32_e32 v29, 1, v28                                  // 000000004890: 263A3881
	v_xor_b32_e32 v29, v30, v29                                // 000000004894: 2A3A3B1E
	v_mul_i32_i24_e32 v29, 8, v29                              // 000000004898: 0C3A3A88
	v_add_u32_e32 v17, v29, v17                                // 00000000489C: 6822231D
	v_lshlrev_b32_e32 v17, 2, v17                              // 0000000048A0: 24222282
	v_lshrrev_b32_e32 v28, 5, v0                               // 0000000048A4: 20380085
	v_mul_i32_i24_e32 v18, 32, v28                             // 0000000048A8: 0C2438A0
	v_and_b32_e32 v28, 31, v0                                  // 0000000048AC: 2638009F
	v_and_b32_e32 v28, 3, v28                                  // 0000000048B0: 26383883
	v_and_b32_e32 v29, 1, v28                                  // 0000000048B4: 263A3881
	v_mul_i32_i24_e32 v29, 4, v29                              // 0000000048B8: 0C3A3A84
	v_add_u32_e32 v18, v29, v18                                // 0000000048BC: 6824251D
	v_and_b32_e32 v29, 2, v28                                  // 0000000048C0: 263A3882
	v_lshrrev_b32_e32 v29, 1, v29                              // 0000000048C4: 203A3A81
	v_add_u32_e32 v18, v29, v18                                // 0000000048C8: 6824251D
	v_and_b32_e32 v28, 31, v0                                  // 0000000048CC: 2638009F
	v_lshrrev_b32_e32 v28, 2, v28                              // 0000000048D0: 20383882
	v_and_b32_e32 v30, 1, v28                                  // 0000000048D4: 263C3881
	v_mul_i32_i24_e32 v29, 16, v30                             // 0000000048D8: 0C3A3C90
	v_add_u32_e32 v18, v29, v18                                // 0000000048DC: 6824251D
	v_and_b32_e32 v29, 2, v28                                  // 0000000048E0: 263A3882
	v_add_u32_e32 v18, v29, v18                                // 0000000048E4: 6824251D
	v_lshrrev_b32_e32 v29, 2, v28                              // 0000000048E8: 203A3882
	v_xor_b32_e32 v29, v30, v29                                // 0000000048EC: 2A3A3B1E
	v_mul_i32_i24_e32 v29, 8, v29                              // 0000000048F0: 0C3A3A88
	v_add_u32_e32 v18, v29, v18                                // 0000000048F4: 6824251D
	s_and_b32 s60, 1, s46                                      // 0000000048F8: 863C2E81
	s_mul_i32 s60, s60, 64                                     // 0000000048FC: 923CC03C
	s_lshr_b32 s61, s46, 1                                     // 000000004900: 8F3D812E
	s_mul_i32 s61, s61, 0x120                                  // 000000004904: 923DFF3D 00000120
	s_add_u32 s60, s60, s61                                    // 00000000490C: 803C3D3C
	v_add_u32_e32 v18, s60, v18                                // 000000004910: 6824243C
	v_lshlrev_b32_e32 v18, 2, v18                              // 000000004914: 24242482
	buffer_load_dword v152, v1, s[12:15], 0 idxen              // 000000004918: E0502000 80039801
	buffer_load_dword v153, v2, s[12:15], 0 idxen              // 000000004920: E0502000 80039902
	buffer_load_dword v154, v3, s[12:15], 0 idxen              // 000000004928: E0502000 80039A03
	buffer_load_dword v155, v4, s[12:15], 0 idxen              // 000000004930: E0502000 80039B04
	s_mul_i32 s60, 4, s6                                       // 000000004938: 923C0684
	s_cmp_lt_i32 0, s72                                        // 00000000493C: BF044880
	s_cselect_b32 s60, s60, 0                                  // 000000004940: 853C803C
	v_add_u32_e32 v1, s60, v1                                  // 000000004944: 6802023C
	v_add_u32_e32 v2, s60, v2                                  // 000000004948: 6804043C
	v_add_u32_e32 v3, s60, v3                                  // 00000000494C: 6806063C
	v_add_u32_e32 v4, s60, v4                                  // 000000004950: 6808083C
	buffer_load_dword v156, v1, s[12:15], 0 idxen              // 000000004954: E0502000 80039C01
	buffer_load_dword v157, v2, s[12:15], 0 idxen              // 00000000495C: E0502000 80039D02
	buffer_load_dword v158, v3, s[12:15], 0 idxen              // 000000004964: E0502000 80039E03
	buffer_load_dword v159, v4, s[12:15], 0 idxen              // 00000000496C: E0502000 80039F04
	s_mul_i32 s60, 4, s6                                       // 000000004974: 923C0684
	s_cmp_lt_i32 0, s72                                        // 000000004978: BF044880
	s_cselect_b32 s60, s60, 0                                  // 00000000497C: 853C803C
	v_add_u32_e32 v1, s60, v1                                  // 000000004980: 6802023C
	v_add_u32_e32 v2, s60, v2                                  // 000000004984: 6804043C
	v_add_u32_e32 v3, s60, v3                                  // 000000004988: 6806063C
	v_add_u32_e32 v4, s60, v4                                  // 00000000498C: 6808083C
	buffer_load_dword v160, v1, s[12:15], 0 idxen              // 000000004990: E0502000 8003A001
	buffer_load_dword v161, v2, s[12:15], 0 idxen              // 000000004998: E0502000 8003A102
	buffer_load_dword v162, v3, s[12:15], 0 idxen              // 0000000049A0: E0502000 8003A203
	buffer_load_dword v163, v4, s[12:15], 0 idxen              // 0000000049A8: E0502000 8003A304
	s_mul_i32 s60, 4, s6                                       // 0000000049B0: 923C0684
	s_cmp_lt_i32 0, s72                                        // 0000000049B4: BF044880
	s_cselect_b32 s60, s60, 0                                  // 0000000049B8: 853C803C
	v_add_u32_e32 v1, s60, v1                                  // 0000000049BC: 6802023C
	v_add_u32_e32 v2, s60, v2                                  // 0000000049C0: 6804043C
	v_add_u32_e32 v3, s60, v3                                  // 0000000049C4: 6806063C
	v_add_u32_e32 v4, s60, v4                                  // 0000000049C8: 6808083C
	buffer_load_dword v164, v1, s[12:15], 0 idxen              // 0000000049CC: E0502000 8003A401
	buffer_load_dword v165, v2, s[12:15], 0 idxen              // 0000000049D4: E0502000 8003A502
	buffer_load_dword v166, v3, s[12:15], 0 idxen              // 0000000049DC: E0502000 8003A603
	buffer_load_dword v167, v4, s[12:15], 0 idxen              // 0000000049E4: E0502000 8003A704
	s_mul_i32 s60, 4, s6                                       // 0000000049EC: 923C0684
	s_cmp_lt_i32 1, s72                                        // 0000000049F0: BF044881
	s_cselect_b32 s60, s60, 0                                  // 0000000049F4: 853C803C
	v_add_u32_e32 v1, s60, v1                                  // 0000000049F8: 6802023C
	v_add_u32_e32 v2, s60, v2                                  // 0000000049FC: 6804043C
	v_add_u32_e32 v3, s60, v3                                  // 000000004A00: 6806063C
	v_add_u32_e32 v4, s60, v4                                  // 000000004A04: 6808083C
	buffer_load_dword v168, v1, s[12:15], 0 idxen              // 000000004A08: E0502000 8003A801
	buffer_load_dword v169, v2, s[12:15], 0 idxen              // 000000004A10: E0502000 8003A902
	buffer_load_dword v170, v3, s[12:15], 0 idxen              // 000000004A18: E0502000 8003AA03
	buffer_load_dword v171, v4, s[12:15], 0 idxen              // 000000004A20: E0502000 8003AB04
	s_mul_i32 s60, 4, s6                                       // 000000004A28: 923C0684
	s_cmp_lt_i32 1, s72                                        // 000000004A2C: BF044881
	s_cselect_b32 s60, s60, 0                                  // 000000004A30: 853C803C
	v_add_u32_e32 v1, s60, v1                                  // 000000004A34: 6802023C
	v_add_u32_e32 v2, s60, v2                                  // 000000004A38: 6804043C
	v_add_u32_e32 v3, s60, v3                                  // 000000004A3C: 6806063C
	v_add_u32_e32 v4, s60, v4                                  // 000000004A40: 6808083C
	buffer_load_dword v172, v1, s[12:15], 0 idxen              // 000000004A44: E0502000 8003AC01
	buffer_load_dword v173, v2, s[12:15], 0 idxen              // 000000004A4C: E0502000 8003AD02
	buffer_load_dword v174, v3, s[12:15], 0 idxen              // 000000004A54: E0502000 8003AE03
	buffer_load_dword v175, v4, s[12:15], 0 idxen              // 000000004A5C: E0502000 8003AF04
	s_mul_i32 s60, 4, s6                                       // 000000004A64: 923C0684
	s_cmp_lt_i32 1, s72                                        // 000000004A68: BF044881
	s_cselect_b32 s60, s60, 0                                  // 000000004A6C: 853C803C
	v_add_u32_e32 v1, s60, v1                                  // 000000004A70: 6802023C
	v_add_u32_e32 v2, s60, v2                                  // 000000004A74: 6804043C
	v_add_u32_e32 v3, s60, v3                                  // 000000004A78: 6806063C
	v_add_u32_e32 v4, s60, v4                                  // 000000004A7C: 6808083C
	buffer_load_dword v176, v1, s[12:15], 0 idxen              // 000000004A80: E0502000 8003B001
	buffer_load_dword v177, v2, s[12:15], 0 idxen              // 000000004A88: E0502000 8003B102
	buffer_load_dword v178, v3, s[12:15], 0 idxen              // 000000004A90: E0502000 8003B203
	buffer_load_dword v179, v4, s[12:15], 0 idxen              // 000000004A98: E0502000 8003B304
	s_mul_i32 s60, 4, s6                                       // 000000004AA0: 923C0684
	s_cmp_lt_i32 1, s72                                        // 000000004AA4: BF044881
	s_cselect_b32 s60, s60, 0                                  // 000000004AA8: 853C803C
	v_add_u32_e32 v1, s60, v1                                  // 000000004AAC: 6802023C
	v_add_u32_e32 v2, s60, v2                                  // 000000004AB0: 6804043C
	v_add_u32_e32 v3, s60, v3                                  // 000000004AB4: 6806063C
	v_add_u32_e32 v4, s60, v4                                  // 000000004AB8: 6808083C
	buffer_load_dword v180, v1, s[12:15], 0 idxen              // 000000004ABC: E0502000 8003B401
	buffer_load_dword v181, v2, s[12:15], 0 idxen              // 000000004AC4: E0502000 8003B502
	buffer_load_dword v182, v3, s[12:15], 0 idxen              // 000000004ACC: E0502000 8003B603
	buffer_load_dword v183, v4, s[12:15], 0 idxen              // 000000004AD4: E0502000 8003B704
	s_mul_i32 s60, 4, s6                                       // 000000004ADC: 923C0684
	s_cmp_lt_i32 2, s72                                        // 000000004AE0: BF044882
	s_cselect_b32 s60, s60, 0                                  // 000000004AE4: 853C803C
	v_add_u32_e32 v1, s60, v1                                  // 000000004AE8: 6802023C
	v_add_u32_e32 v2, s60, v2                                  // 000000004AEC: 6804043C
	v_add_u32_e32 v3, s60, v3                                  // 000000004AF0: 6806063C
	v_add_u32_e32 v4, s60, v4                                  // 000000004AF4: 6808083C
	buffer_load_dword v184, v1, s[12:15], 0 idxen              // 000000004AF8: E0502000 8003B801
	buffer_load_dword v185, v2, s[12:15], 0 idxen              // 000000004B00: E0502000 8003B902
	buffer_load_dword v186, v3, s[12:15], 0 idxen              // 000000004B08: E0502000 8003BA03
	buffer_load_dword v187, v4, s[12:15], 0 idxen              // 000000004B10: E0502000 8003BB04
	s_mul_i32 s60, 4, s6                                       // 000000004B18: 923C0684
	s_cmp_lt_i32 2, s72                                        // 000000004B1C: BF044882
	s_cselect_b32 s60, s60, 0                                  // 000000004B20: 853C803C
	v_add_u32_e32 v1, s60, v1                                  // 000000004B24: 6802023C
	v_add_u32_e32 v2, s60, v2                                  // 000000004B28: 6804043C
	v_add_u32_e32 v3, s60, v3                                  // 000000004B2C: 6806063C
	v_add_u32_e32 v4, s60, v4                                  // 000000004B30: 6808083C
	buffer_load_dword v188, v1, s[12:15], 0 idxen              // 000000004B34: E0502000 8003BC01
	buffer_load_dword v189, v2, s[12:15], 0 idxen              // 000000004B3C: E0502000 8003BD02
	buffer_load_dword v190, v3, s[12:15], 0 idxen              // 000000004B44: E0502000 8003BE03
	buffer_load_dword v191, v4, s[12:15], 0 idxen              // 000000004B4C: E0502000 8003BF04
	s_mul_i32 s60, 4, s6                                       // 000000004B54: 923C0684
	s_cmp_lt_i32 2, s72                                        // 000000004B58: BF044882
	s_cselect_b32 s60, s60, 0                                  // 000000004B5C: 853C803C
	v_add_u32_e32 v1, s60, v1                                  // 000000004B60: 6802023C
	v_add_u32_e32 v2, s60, v2                                  // 000000004B64: 6804043C
	v_add_u32_e32 v3, s60, v3                                  // 000000004B68: 6806063C
	v_add_u32_e32 v4, s60, v4                                  // 000000004B6C: 6808083C
	buffer_load_dword v192, v1, s[12:15], 0 idxen              // 000000004B70: E0502000 8003C001
	buffer_load_dword v193, v2, s[12:15], 0 idxen              // 000000004B78: E0502000 8003C102
	buffer_load_dword v194, v3, s[12:15], 0 idxen              // 000000004B80: E0502000 8003C203
	buffer_load_dword v195, v4, s[12:15], 0 idxen              // 000000004B88: E0502000 8003C304
	s_mul_i32 s60, 4, s6                                       // 000000004B90: 923C0684
	s_cmp_lt_i32 2, s72                                        // 000000004B94: BF044882
	s_cselect_b32 s60, s60, 0                                  // 000000004B98: 853C803C
	v_add_u32_e32 v1, s60, v1                                  // 000000004B9C: 6802023C
	v_add_u32_e32 v2, s60, v2                                  // 000000004BA0: 6804043C
	v_add_u32_e32 v3, s60, v3                                  // 000000004BA4: 6806063C
	v_add_u32_e32 v4, s60, v4                                  // 000000004BA8: 6808083C
	buffer_load_dword v196, v1, s[12:15], 0 idxen              // 000000004BAC: E0502000 8003C401
	buffer_load_dword v197, v2, s[12:15], 0 idxen              // 000000004BB4: E0502000 8003C502
	buffer_load_dword v198, v3, s[12:15], 0 idxen              // 000000004BBC: E0502000 8003C603
	buffer_load_dword v199, v4, s[12:15], 0 idxen              // 000000004BC4: E0502000 8003C704
	s_mul_i32 s60, 4, s6                                       // 000000004BCC: 923C0684
	s_cmp_lt_i32 3, s72                                        // 000000004BD0: BF044883
	s_cselect_b32 s60, s60, 0                                  // 000000004BD4: 853C803C
	v_add_u32_e32 v1, s60, v1                                  // 000000004BD8: 6802023C
	v_add_u32_e32 v2, s60, v2                                  // 000000004BDC: 6804043C
	v_add_u32_e32 v3, s60, v3                                  // 000000004BE0: 6806063C
	v_add_u32_e32 v4, s60, v4                                  // 000000004BE4: 6808083C
	s_waitcnt vmcnt(32) lgkmcnt(0)                             // 000000004BE8: BF8C8070
	s_barrier                                                  // 000000004BEC: BF8A0000
	s_cmp_lt_i32 0, s72                                        // 000000004BF0: BF044880
	s_cbranch_scc1 label_038E                                  // 000000004BF4: BF850010
	v_mov_b32_e32 v152, 0                                      // 000000004BF8: 7F300280
	v_mov_b32_e32 v153, 0                                      // 000000004BFC: 7F320280
	v_mov_b32_e32 v154, 0                                      // 000000004C00: 7F340280
	v_mov_b32_e32 v155, 0                                      // 000000004C04: 7F360280
	v_mov_b32_e32 v156, 0                                      // 000000004C08: 7F380280
	v_mov_b32_e32 v157, 0                                      // 000000004C0C: 7F3A0280
	v_mov_b32_e32 v158, 0                                      // 000000004C10: 7F3C0280
	v_mov_b32_e32 v159, 0                                      // 000000004C14: 7F3E0280
	v_mov_b32_e32 v160, 0                                      // 000000004C18: 7F400280
	v_mov_b32_e32 v161, 0                                      // 000000004C1C: 7F420280
	v_mov_b32_e32 v162, 0                                      // 000000004C20: 7F440280
	v_mov_b32_e32 v163, 0                                      // 000000004C24: 7F460280
	v_mov_b32_e32 v164, 0                                      // 000000004C28: 7F480280
	v_mov_b32_e32 v165, 0                                      // 000000004C2C: 7F4A0280
	v_mov_b32_e32 v166, 0                                      // 000000004C30: 7F4C0280
	v_mov_b32_e32 v167, 0                                      // 000000004C34: 7F4E0280

0000000000004c38 <label_038E>:
	v_perm_b32 v200, v153, v152, s63                           // 000000004C38: D1ED00C8 00FF3199
	v_perm_b32 v201, v153, v152, s64                           // 000000004C40: D1ED00C9 01033199
	v_perm_b32 v202, v155, v154, s63                           // 000000004C48: D1ED00CA 00FF359B
	v_perm_b32 v203, v155, v154, s64                           // 000000004C50: D1ED00CB 0103359B
	v_perm_b32 v204, v157, v156, s63                           // 000000004C58: D1ED00CC 00FF399D
	v_perm_b32 v205, v157, v156, s64                           // 000000004C60: D1ED00CD 0103399D
	v_perm_b32 v206, v159, v158, s63                           // 000000004C68: D1ED00CE 00FF3D9F
	v_perm_b32 v207, v159, v158, s64                           // 000000004C70: D1ED00CF 01033D9F
	v_perm_b32 v208, v161, v160, s63                           // 000000004C78: D1ED00D0 00FF41A1
	v_perm_b32 v209, v161, v160, s64                           // 000000004C80: D1ED00D1 010341A1
	v_perm_b32 v210, v163, v162, s63                           // 000000004C88: D1ED00D2 00FF45A3
	v_perm_b32 v211, v163, v162, s64                           // 000000004C90: D1ED00D3 010345A3
	v_perm_b32 v212, v165, v164, s63                           // 000000004C98: D1ED00D4 00FF49A5
	v_perm_b32 v213, v165, v164, s64                           // 000000004CA0: D1ED00D5 010349A5
	v_perm_b32 v214, v167, v166, s63                           // 000000004CA8: D1ED00D6 00FF4DA7
	v_perm_b32 v215, v167, v166, s64                           // 000000004CB0: D1ED00D7 01034DA7
	ds_write_b32 v13, v200 offset:17408                        // 000000004CB8: D81A4400 0000C80D
	ds_write_b32 v13, v201 offset:18464                        // 000000004CC0: D81A4820 0000C90D
	ds_write_b32 v13, v202 offset:17536                        // 000000004CC8: D81A4480 0000CA0D
	ds_write_b32 v13, v203 offset:18592                        // 000000004CD0: D81A48A0 0000CB0D
	ds_write_b32 v13, v204 offset:21760                        // 000000004CD8: D81A5500 0000CC0D
	ds_write_b32 v13, v205 offset:22816                        // 000000004CE0: D81A5920 0000CD0D
	ds_write_b32 v13, v206 offset:21888                        // 000000004CE8: D81A5580 0000CE0D
	ds_write_b32 v13, v207 offset:22944                        // 000000004CF0: D81A59A0 0000CF0D
	ds_write_b32 v13, v208 offset:26112                        // 000000004CF8: D81A6600 0000D00D
	ds_write_b32 v13, v209 offset:27168                        // 000000004D00: D81A6A20 0000D10D
	ds_write_b32 v13, v210 offset:26240                        // 000000004D08: D81A6680 0000D20D
	ds_write_b32 v13, v211 offset:27296                        // 000000004D10: D81A6AA0 0000D30D
	ds_write_b32 v13, v212 offset:30464                        // 000000004D18: D81A7700 0000D40D
	ds_write_b32 v13, v213 offset:31520                        // 000000004D20: D81A7B20 0000D50D
	ds_write_b32 v13, v214 offset:30592                        // 000000004D28: D81A7780 0000D60D
	ds_write_b32 v13, v215 offset:31648                        // 000000004D30: D81A7BA0 0000D70D
	ds_write_b32 v11, v152                                     // 000000004D38: D81A0000 0000980B
	ds_write_b32 v11, v153 offset:1056                         // 000000004D40: D81A0420 0000990B
	ds_write_b32 v11, v154 offset:128                          // 000000004D48: D81A0080 00009A0B
	ds_write_b32 v11, v155 offset:1184                         // 000000004D50: D81A04A0 00009B0B
	ds_write_b32 v11, v156 offset:4352                         // 000000004D58: D81A1100 00009C0B
	ds_write_b32 v11, v157 offset:5408                         // 000000004D60: D81A1520 00009D0B
	ds_write_b32 v11, v158 offset:4480                         // 000000004D68: D81A1180 00009E0B
	ds_write_b32 v11, v159 offset:5536                         // 000000004D70: D81A15A0 00009F0B
	ds_write_b32 v11, v160 offset:8704                         // 000000004D78: D81A2200 0000A00B
	ds_write_b32 v11, v161 offset:9760                         // 000000004D80: D81A2620 0000A10B
	ds_write_b32 v11, v162 offset:8832                         // 000000004D88: D81A2280 0000A20B
	ds_write_b32 v11, v163 offset:9888                         // 000000004D90: D81A26A0 0000A30B
	ds_write_b32 v11, v164 offset:13056                        // 000000004D98: D81A3300 0000A40B
	ds_write_b32 v11, v165 offset:14112                        // 000000004DA0: D81A3720 0000A50B
	ds_write_b32 v11, v166 offset:13184                        // 000000004DA8: D81A3380 0000A60B
	ds_write_b32 v11, v167 offset:14240                        // 000000004DB0: D81A37A0 0000A70B
	buffer_load_dword v152, v252, s[16:19], 0 idxen            // 000000004DB8: E0502000 800498FC
	buffer_load_dword v153, v253, s[16:19], 0 idxen            // 000000004DC0: E0502000 800499FD
	buffer_load_dword v154, v254, s[16:19], 0 idxen            // 000000004DC8: E0502000 80049AFE
	buffer_load_dword v155, v255, s[16:19], 0 idxen            // 000000004DD0: E0502000 80049BFF
	s_mul_i32 s60, 4, s7                                       // 000000004DD8: 923C0784
	s_cmp_lt_i32 0, s72                                        // 000000004DDC: BF044880
	s_cselect_b32 s60, s60, 0                                  // 000000004DE0: 853C803C
	v_add_u32_e32 v252, s60, v252                              // 000000004DE4: 69F9F83C
	v_add_u32_e32 v253, s60, v253                              // 000000004DE8: 69FBFA3C
	v_add_u32_e32 v254, s60, v254                              // 000000004DEC: 69FDFC3C
	v_add_u32_e32 v255, s60, v255                              // 000000004DF0: 69FFFE3C
	buffer_load_dword v156, v252, s[16:19], 0 idxen            // 000000004DF4: E0502000 80049CFC
	buffer_load_dword v157, v253, s[16:19], 0 idxen            // 000000004DFC: E0502000 80049DFD
	buffer_load_dword v158, v254, s[16:19], 0 idxen            // 000000004E04: E0502000 80049EFE
	buffer_load_dword v159, v255, s[16:19], 0 idxen            // 000000004E0C: E0502000 80049FFF
	s_mul_i32 s60, 4, s7                                       // 000000004E14: 923C0784
	s_cmp_lt_i32 0, s72                                        // 000000004E18: BF044880
	s_cselect_b32 s60, s60, 0                                  // 000000004E1C: 853C803C
	v_add_u32_e32 v252, s60, v252                              // 000000004E20: 69F9F83C
	v_add_u32_e32 v253, s60, v253                              // 000000004E24: 69FBFA3C
	v_add_u32_e32 v254, s60, v254                              // 000000004E28: 69FDFC3C
	v_add_u32_e32 v255, s60, v255                              // 000000004E2C: 69FFFE3C
	buffer_load_dword v160, v252, s[16:19], 0 idxen            // 000000004E30: E0502000 8004A0FC
	buffer_load_dword v161, v253, s[16:19], 0 idxen            // 000000004E38: E0502000 8004A1FD
	buffer_load_dword v162, v254, s[16:19], 0 idxen            // 000000004E40: E0502000 8004A2FE
	buffer_load_dword v163, v255, s[16:19], 0 idxen            // 000000004E48: E0502000 8004A3FF
	s_mul_i32 s60, 4, s7                                       // 000000004E50: 923C0784
	s_cmp_lt_i32 0, s72                                        // 000000004E54: BF044880
	s_cselect_b32 s60, s60, 0                                  // 000000004E58: 853C803C
	v_add_u32_e32 v252, s60, v252                              // 000000004E5C: 69F9F83C
	v_add_u32_e32 v253, s60, v253                              // 000000004E60: 69FBFA3C
	v_add_u32_e32 v254, s60, v254                              // 000000004E64: 69FDFC3C
	v_add_u32_e32 v255, s60, v255                              // 000000004E68: 69FFFE3C
	buffer_load_dword v164, v252, s[16:19], 0 idxen            // 000000004E6C: E0502000 8004A4FC
	buffer_load_dword v165, v253, s[16:19], 0 idxen            // 000000004E74: E0502000 8004A5FD
	buffer_load_dword v166, v254, s[16:19], 0 idxen            // 000000004E7C: E0502000 8004A6FE
	buffer_load_dword v167, v255, s[16:19], 0 idxen            // 000000004E84: E0502000 8004A7FF
	s_mul_i32 s60, 4, s7                                       // 000000004E8C: 923C0784
	s_cmp_lt_i32 1, s72                                        // 000000004E90: BF044881
	s_cselect_b32 s60, s60, 0                                  // 000000004E94: 853C803C
	v_add_u32_e32 v252, s60, v252                              // 000000004E98: 69F9F83C
	v_add_u32_e32 v253, s60, v253                              // 000000004E9C: 69FBFA3C
	v_add_u32_e32 v254, s60, v254                              // 000000004EA0: 69FDFC3C
	v_add_u32_e32 v255, s60, v255                              // 000000004EA4: 69FFFE3C
	s_waitcnt lgkmcnt(0)                                       // 000000004EA8: BF8CC07F
	s_barrier                                                  // 000000004EAC: BF8A0000
	ds_read_b128 a[48:51], v23 offset:17408                    // 000000004EB0: DBFE4400 30000017
	ds_read_b128 a[52:55], v23 offset:17664                    // 000000004EB8: DBFE4500 34000017
	ds_read_b128 a[56:59], v23 offset:26112                    // 000000004EC0: DBFE6600 38000017
	ds_read_b128 a[60:63], v23 offset:26368                    // 000000004EC8: DBFE6700 3C000017
	ds_read_b128 a[0:3], v22                                   // 000000004ED0: DBFE0000 00000016
	ds_read_b128 a[4:7], v22 offset:512                        // 000000004ED8: DBFE0200 04000016
	ds_read_b128 a[8:11], v22 offset:2176                      // 000000004EE0: DBFE0880 08000016
	ds_read_b128 a[12:15], v22 offset:2688                     // 000000004EE8: DBFE0A80 0C000016
	s_waitcnt vmcnt(32) lgkmcnt(0)                             // 000000004EF0: BF8C8070
	s_barrier                                                  // 000000004EF4: BF8A0000
	s_cmp_lt_i32 1, s72                                        // 000000004EF8: BF044881
	s_cbranch_scc1 label_0450                                  // 000000004EFC: BF850010
	v_mov_b32_e32 v168, 0                                      // 000000004F00: 7F500280
	v_mov_b32_e32 v169, 0                                      // 000000004F04: 7F520280
	v_mov_b32_e32 v170, 0                                      // 000000004F08: 7F540280
	v_mov_b32_e32 v171, 0                                      // 000000004F0C: 7F560280
	v_mov_b32_e32 v172, 0                                      // 000000004F10: 7F580280
	v_mov_b32_e32 v173, 0                                      // 000000004F14: 7F5A0280
	v_mov_b32_e32 v174, 0                                      // 000000004F18: 7F5C0280
	v_mov_b32_e32 v175, 0                                      // 000000004F1C: 7F5E0280
	v_mov_b32_e32 v176, 0                                      // 000000004F20: 7F600280
	v_mov_b32_e32 v177, 0                                      // 000000004F24: 7F620280
	v_mov_b32_e32 v178, 0                                      // 000000004F28: 7F640280
	v_mov_b32_e32 v179, 0                                      // 000000004F2C: 7F660280
	v_mov_b32_e32 v180, 0                                      // 000000004F30: 7F680280
	v_mov_b32_e32 v181, 0                                      // 000000004F34: 7F6A0280
	v_mov_b32_e32 v182, 0                                      // 000000004F38: 7F6C0280
	v_mov_b32_e32 v183, 0                                      // 000000004F3C: 7F6E0280

0000000000004f40 <label_0450>:
	v_perm_b32 v200, v169, v168, s63                           // 000000004F40: D1ED00C8 00FF51A9
	v_perm_b32 v201, v169, v168, s64                           // 000000004F48: D1ED00C9 010351A9
	v_perm_b32 v202, v171, v170, s63                           // 000000004F50: D1ED00CA 00FF55AB
	v_perm_b32 v203, v171, v170, s64                           // 000000004F58: D1ED00CB 010355AB
	v_perm_b32 v204, v173, v172, s63                           // 000000004F60: D1ED00CC 00FF59AD
	v_perm_b32 v205, v173, v172, s64                           // 000000004F68: D1ED00CD 010359AD
	v_perm_b32 v206, v175, v174, s63                           // 000000004F70: D1ED00CE 00FF5DAF
	v_perm_b32 v207, v175, v174, s64                           // 000000004F78: D1ED00CF 01035DAF
	v_perm_b32 v208, v177, v176, s63                           // 000000004F80: D1ED00D0 00FF61B1
	v_perm_b32 v209, v177, v176, s64                           // 000000004F88: D1ED00D1 010361B1
	v_perm_b32 v210, v179, v178, s63                           // 000000004F90: D1ED00D2 00FF65B3
	v_perm_b32 v211, v179, v178, s64                           // 000000004F98: D1ED00D3 010365B3
	v_perm_b32 v212, v181, v180, s63                           // 000000004FA0: D1ED00D4 00FF69B5
	v_perm_b32 v213, v181, v180, s64                           // 000000004FA8: D1ED00D5 010369B5
	v_perm_b32 v214, v183, v182, s63                           // 000000004FB0: D1ED00D6 00FF6DB7
	v_perm_b32 v215, v183, v182, s64                           // 000000004FB8: D1ED00D7 01036DB7
	ds_write_b32 v13, v200 offset:17408                        // 000000004FC0: D81A4400 0000C80D
	ds_write_b32 v13, v201 offset:18464                        // 000000004FC8: D81A4820 0000C90D
	ds_write_b32 v13, v202 offset:17536                        // 000000004FD0: D81A4480 0000CA0D
	ds_write_b32 v13, v203 offset:18592                        // 000000004FD8: D81A48A0 0000CB0D
	ds_write_b32 v13, v204 offset:21760                        // 000000004FE0: D81A5500 0000CC0D
	ds_write_b32 v13, v205 offset:22816                        // 000000004FE8: D81A5920 0000CD0D
	ds_write_b32 v13, v206 offset:21888                        // 000000004FF0: D81A5580 0000CE0D
	ds_write_b32 v13, v207 offset:22944                        // 000000004FF8: D81A59A0 0000CF0D
	ds_write_b32 v13, v208 offset:26112                        // 000000005000: D81A6600 0000D00D
	ds_write_b32 v13, v209 offset:27168                        // 000000005008: D81A6A20 0000D10D
	ds_write_b32 v13, v210 offset:26240                        // 000000005010: D81A6680 0000D20D
	ds_write_b32 v13, v211 offset:27296                        // 000000005018: D81A6AA0 0000D30D
	ds_write_b32 v13, v212 offset:30464                        // 000000005020: D81A7700 0000D40D
	ds_write_b32 v13, v213 offset:31520                        // 000000005028: D81A7B20 0000D50D
	ds_write_b32 v13, v214 offset:30592                        // 000000005030: D81A7780 0000D60D
	ds_write_b32 v13, v215 offset:31648                        // 000000005038: D81A7BA0 0000D70D
	ds_write_b32 v11, v168                                     // 000000005040: D81A0000 0000A80B
	ds_write_b32 v11, v169 offset:1056                         // 000000005048: D81A0420 0000A90B
	ds_write_b32 v11, v170 offset:128                          // 000000005050: D81A0080 0000AA0B
	ds_write_b32 v11, v171 offset:1184                         // 000000005058: D81A04A0 0000AB0B
	ds_write_b32 v11, v172 offset:4352                         // 000000005060: D81A1100 0000AC0B
	ds_write_b32 v11, v173 offset:5408                         // 000000005068: D81A1520 0000AD0B
	ds_write_b32 v11, v174 offset:4480                         // 000000005070: D81A1180 0000AE0B
	ds_write_b32 v11, v175 offset:5536                         // 000000005078: D81A15A0 0000AF0B
	ds_write_b32 v11, v176 offset:8704                         // 000000005080: D81A2200 0000B00B
	ds_write_b32 v11, v177 offset:9760                         // 000000005088: D81A2620 0000B10B
	ds_write_b32 v11, v178 offset:8832                         // 000000005090: D81A2280 0000B20B
	ds_write_b32 v11, v179 offset:9888                         // 000000005098: D81A26A0 0000B30B
	ds_write_b32 v11, v180 offset:13056                        // 0000000050A0: D81A3300 0000B40B
	ds_write_b32 v11, v181 offset:14112                        // 0000000050A8: D81A3720 0000B50B
	ds_write_b32 v11, v182 offset:13184                        // 0000000050B0: D81A3380 0000B60B
	ds_write_b32 v11, v183 offset:14240                        // 0000000050B8: D81A37A0 0000B70B
	buffer_load_dword v168, v252, s[16:19], 0 idxen            // 0000000050C0: E0502000 8004A8FC
	buffer_load_dword v169, v253, s[16:19], 0 idxen            // 0000000050C8: E0502000 8004A9FD
	buffer_load_dword v170, v254, s[16:19], 0 idxen            // 0000000050D0: E0502000 8004AAFE
	buffer_load_dword v171, v255, s[16:19], 0 idxen            // 0000000050D8: E0502000 8004ABFF
	s_mul_i32 s60, 4, s7                                       // 0000000050E0: 923C0784
	s_cmp_lt_i32 1, s72                                        // 0000000050E4: BF044881
	s_cselect_b32 s60, s60, 0                                  // 0000000050E8: 853C803C
	v_add_u32_e32 v252, s60, v252                              // 0000000050EC: 69F9F83C
	v_add_u32_e32 v253, s60, v253                              // 0000000050F0: 69FBFA3C
	v_add_u32_e32 v254, s60, v254                              // 0000000050F4: 69FDFC3C
	v_add_u32_e32 v255, s60, v255                              // 0000000050F8: 69FFFE3C
	buffer_load_dword v172, v252, s[16:19], 0 idxen            // 0000000050FC: E0502000 8004ACFC
	buffer_load_dword v173, v253, s[16:19], 0 idxen            // 000000005104: E0502000 8004ADFD
	buffer_load_dword v174, v254, s[16:19], 0 idxen            // 00000000510C: E0502000 8004AEFE
	buffer_load_dword v175, v255, s[16:19], 0 idxen            // 000000005114: E0502000 8004AFFF
	s_mul_i32 s60, 4, s7                                       // 00000000511C: 923C0784
	s_cmp_lt_i32 1, s72                                        // 000000005120: BF044881
	s_cselect_b32 s60, s60, 0                                  // 000000005124: 853C803C
	v_add_u32_e32 v252, s60, v252                              // 000000005128: 69F9F83C
	v_add_u32_e32 v253, s60, v253                              // 00000000512C: 69FBFA3C
	v_add_u32_e32 v254, s60, v254                              // 000000005130: 69FDFC3C
	v_add_u32_e32 v255, s60, v255                              // 000000005134: 69FFFE3C
	buffer_load_dword v176, v252, s[16:19], 0 idxen            // 000000005138: E0502000 8004B0FC
	buffer_load_dword v177, v253, s[16:19], 0 idxen            // 000000005140: E0502000 8004B1FD
	buffer_load_dword v178, v254, s[16:19], 0 idxen            // 000000005148: E0502000 8004B2FE
	buffer_load_dword v179, v255, s[16:19], 0 idxen            // 000000005150: E0502000 8004B3FF
	s_mul_i32 s60, 4, s7                                       // 000000005158: 923C0784
	s_cmp_lt_i32 1, s72                                        // 00000000515C: BF044881
	s_cselect_b32 s60, s60, 0                                  // 000000005160: 853C803C
	v_add_u32_e32 v252, s60, v252                              // 000000005164: 69F9F83C
	v_add_u32_e32 v253, s60, v253                              // 000000005168: 69FBFA3C
	v_add_u32_e32 v254, s60, v254                              // 00000000516C: 69FDFC3C
	v_add_u32_e32 v255, s60, v255                              // 000000005170: 69FFFE3C
	buffer_load_dword v180, v252, s[16:19], 0 idxen            // 000000005174: E0502000 8004B4FC
	buffer_load_dword v181, v253, s[16:19], 0 idxen            // 00000000517C: E0502000 8004B5FD
	buffer_load_dword v182, v254, s[16:19], 0 idxen            // 000000005184: E0502000 8004B6FE
	buffer_load_dword v183, v255, s[16:19], 0 idxen            // 00000000518C: E0502000 8004B7FF
	s_mul_i32 s60, 4, s7                                       // 000000005194: 923C0784
	s_cmp_lt_i32 2, s72                                        // 000000005198: BF044882
	s_cselect_b32 s60, s60, 0                                  // 00000000519C: 853C803C
	v_add_u32_e32 v252, s60, v252                              // 0000000051A0: 69F9F83C
	v_add_u32_e32 v253, s60, v253                              // 0000000051A4: 69FBFA3C
	v_add_u32_e32 v254, s60, v254                              // 0000000051A8: 69FDFC3C
	v_add_u32_e32 v255, s60, v255                              // 0000000051AC: 69FFFE3C
	s_waitcnt lgkmcnt(0)                                       // 0000000051B0: BF8CC07F
	s_barrier                                                  // 0000000051B4: BF8A0000
	ds_read_b128 a[64:67], v23 offset:17408                    // 0000000051B8: DBFE4400 40000017
	ds_read_b128 a[68:71], v23 offset:17664                    // 0000000051C0: DBFE4500 44000017
	ds_read_b128 a[72:75], v23 offset:26112                    // 0000000051C8: DBFE6600 48000017
	ds_read_b128 a[76:79], v23 offset:26368                    // 0000000051D0: DBFE6700 4C000017
	ds_read_b128 a[16:19], v22                                 // 0000000051D8: DBFE0000 10000016
	ds_read_b128 a[20:23], v22 offset:512                      // 0000000051E0: DBFE0200 14000016
	ds_read_b128 a[24:27], v22 offset:2176                     // 0000000051E8: DBFE0880 18000016
	ds_read_b128 a[28:31], v22 offset:2688                     // 0000000051F0: DBFE0A80 1C000016
	s_waitcnt vmcnt(32) lgkmcnt(0)                             // 0000000051F8: BF8C8070
	s_barrier                                                  // 0000000051FC: BF8A0000
	s_cmp_lt_i32 2, s72                                        // 000000005200: BF044882
	s_cbranch_scc1 label_0512                                  // 000000005204: BF850010
	v_mov_b32_e32 v184, 0                                      // 000000005208: 7F700280
	v_mov_b32_e32 v185, 0                                      // 00000000520C: 7F720280
	v_mov_b32_e32 v186, 0                                      // 000000005210: 7F740280
	v_mov_b32_e32 v187, 0                                      // 000000005214: 7F760280
	v_mov_b32_e32 v188, 0                                      // 000000005218: 7F780280
	v_mov_b32_e32 v189, 0                                      // 00000000521C: 7F7A0280
	v_mov_b32_e32 v190, 0                                      // 000000005220: 7F7C0280
	v_mov_b32_e32 v191, 0                                      // 000000005224: 7F7E0280
	v_mov_b32_e32 v192, 0                                      // 000000005228: 7F800280
	v_mov_b32_e32 v193, 0                                      // 00000000522C: 7F820280
	v_mov_b32_e32 v194, 0                                      // 000000005230: 7F840280
	v_mov_b32_e32 v195, 0                                      // 000000005234: 7F860280
	v_mov_b32_e32 v196, 0                                      // 000000005238: 7F880280
	v_mov_b32_e32 v197, 0                                      // 00000000523C: 7F8A0280
	v_mov_b32_e32 v198, 0                                      // 000000005240: 7F8C0280
	v_mov_b32_e32 v199, 0                                      // 000000005244: 7F8E0280

0000000000005248 <label_0512>:
	v_perm_b32 v200, v185, v184, s63                           // 000000005248: D1ED00C8 00FF71B9
	v_perm_b32 v201, v185, v184, s64                           // 000000005250: D1ED00C9 010371B9
	v_perm_b32 v202, v187, v186, s63                           // 000000005258: D1ED00CA 00FF75BB
	v_perm_b32 v203, v187, v186, s64                           // 000000005260: D1ED00CB 010375BB
	v_perm_b32 v204, v189, v188, s63                           // 000000005268: D1ED00CC 00FF79BD
	v_perm_b32 v205, v189, v188, s64                           // 000000005270: D1ED00CD 010379BD
	v_perm_b32 v206, v191, v190, s63                           // 000000005278: D1ED00CE 00FF7DBF
	v_perm_b32 v207, v191, v190, s64                           // 000000005280: D1ED00CF 01037DBF
	v_perm_b32 v208, v193, v192, s63                           // 000000005288: D1ED00D0 00FF81C1
	v_perm_b32 v209, v193, v192, s64                           // 000000005290: D1ED00D1 010381C1
	v_perm_b32 v210, v195, v194, s63                           // 000000005298: D1ED00D2 00FF85C3
	v_perm_b32 v211, v195, v194, s64                           // 0000000052A0: D1ED00D3 010385C3
	v_perm_b32 v212, v197, v196, s63                           // 0000000052A8: D1ED00D4 00FF89C5
	v_perm_b32 v213, v197, v196, s64                           // 0000000052B0: D1ED00D5 010389C5
	v_perm_b32 v214, v199, v198, s63                           // 0000000052B8: D1ED00D6 00FF8DC7
	v_perm_b32 v215, v199, v198, s64                           // 0000000052C0: D1ED00D7 01038DC7
	ds_write_b32 v13, v200 offset:17408                        // 0000000052C8: D81A4400 0000C80D
	ds_write_b32 v13, v201 offset:18464                        // 0000000052D0: D81A4820 0000C90D
	ds_write_b32 v13, v202 offset:17536                        // 0000000052D8: D81A4480 0000CA0D
	ds_write_b32 v13, v203 offset:18592                        // 0000000052E0: D81A48A0 0000CB0D
	ds_write_b32 v13, v204 offset:21760                        // 0000000052E8: D81A5500 0000CC0D
	ds_write_b32 v13, v205 offset:22816                        // 0000000052F0: D81A5920 0000CD0D
	ds_write_b32 v13, v206 offset:21888                        // 0000000052F8: D81A5580 0000CE0D
	ds_write_b32 v13, v207 offset:22944                        // 000000005300: D81A59A0 0000CF0D
	ds_write_b32 v13, v208 offset:26112                        // 000000005308: D81A6600 0000D00D
	ds_write_b32 v13, v209 offset:27168                        // 000000005310: D81A6A20 0000D10D
	ds_write_b32 v13, v210 offset:26240                        // 000000005318: D81A6680 0000D20D
	ds_write_b32 v13, v211 offset:27296                        // 000000005320: D81A6AA0 0000D30D
	ds_write_b32 v13, v212 offset:30464                        // 000000005328: D81A7700 0000D40D
	ds_write_b32 v13, v213 offset:31520                        // 000000005330: D81A7B20 0000D50D
	ds_write_b32 v13, v214 offset:30592                        // 000000005338: D81A7780 0000D60D
	ds_write_b32 v13, v215 offset:31648                        // 000000005340: D81A7BA0 0000D70D
	ds_write_b32 v11, v184                                     // 000000005348: D81A0000 0000B80B
	ds_write_b32 v11, v185 offset:1056                         // 000000005350: D81A0420 0000B90B
	ds_write_b32 v11, v186 offset:128                          // 000000005358: D81A0080 0000BA0B
	ds_write_b32 v11, v187 offset:1184                         // 000000005360: D81A04A0 0000BB0B
	ds_write_b32 v11, v188 offset:4352                         // 000000005368: D81A1100 0000BC0B
	ds_write_b32 v11, v189 offset:5408                         // 000000005370: D81A1520 0000BD0B
	ds_write_b32 v11, v190 offset:4480                         // 000000005378: D81A1180 0000BE0B
	ds_write_b32 v11, v191 offset:5536                         // 000000005380: D81A15A0 0000BF0B
	ds_write_b32 v11, v192 offset:8704                         // 000000005388: D81A2200 0000C00B
	ds_write_b32 v11, v193 offset:9760                         // 000000005390: D81A2620 0000C10B
	ds_write_b32 v11, v194 offset:8832                         // 000000005398: D81A2280 0000C20B
	ds_write_b32 v11, v195 offset:9888                         // 0000000053A0: D81A26A0 0000C30B
	ds_write_b32 v11, v196 offset:13056                        // 0000000053A8: D81A3300 0000C40B
	ds_write_b32 v11, v197 offset:14112                        // 0000000053B0: D81A3720 0000C50B
	ds_write_b32 v11, v198 offset:13184                        // 0000000053B8: D81A3380 0000C60B
	ds_write_b32 v11, v199 offset:14240                        // 0000000053C0: D81A37A0 0000C70B
	buffer_load_dword v184, v252, s[16:19], 0 idxen            // 0000000053C8: E0502000 8004B8FC
	buffer_load_dword v185, v253, s[16:19], 0 idxen            // 0000000053D0: E0502000 8004B9FD
	buffer_load_dword v186, v254, s[16:19], 0 idxen            // 0000000053D8: E0502000 8004BAFE
	buffer_load_dword v187, v255, s[16:19], 0 idxen            // 0000000053E0: E0502000 8004BBFF
	s_mul_i32 s60, 4, s7                                       // 0000000053E8: 923C0784
	s_cmp_lt_i32 2, s72                                        // 0000000053EC: BF044882
	s_cselect_b32 s60, s60, 0                                  // 0000000053F0: 853C803C
	v_add_u32_e32 v252, s60, v252                              // 0000000053F4: 69F9F83C
	v_add_u32_e32 v253, s60, v253                              // 0000000053F8: 69FBFA3C
	v_add_u32_e32 v254, s60, v254                              // 0000000053FC: 69FDFC3C
	v_add_u32_e32 v255, s60, v255                              // 000000005400: 69FFFE3C
	buffer_load_dword v188, v252, s[16:19], 0 idxen            // 000000005404: E0502000 8004BCFC
	buffer_load_dword v189, v253, s[16:19], 0 idxen            // 00000000540C: E0502000 8004BDFD
	buffer_load_dword v190, v254, s[16:19], 0 idxen            // 000000005414: E0502000 8004BEFE
	buffer_load_dword v191, v255, s[16:19], 0 idxen            // 00000000541C: E0502000 8004BFFF
	s_mul_i32 s60, 4, s7                                       // 000000005424: 923C0784
	s_cmp_lt_i32 2, s72                                        // 000000005428: BF044882
	s_cselect_b32 s60, s60, 0                                  // 00000000542C: 853C803C
	v_add_u32_e32 v252, s60, v252                              // 000000005430: 69F9F83C
	v_add_u32_e32 v253, s60, v253                              // 000000005434: 69FBFA3C
	v_add_u32_e32 v254, s60, v254                              // 000000005438: 69FDFC3C
	v_add_u32_e32 v255, s60, v255                              // 00000000543C: 69FFFE3C
	buffer_load_dword v192, v252, s[16:19], 0 idxen            // 000000005440: E0502000 8004C0FC
	buffer_load_dword v193, v253, s[16:19], 0 idxen            // 000000005448: E0502000 8004C1FD
	buffer_load_dword v194, v254, s[16:19], 0 idxen            // 000000005450: E0502000 8004C2FE
	buffer_load_dword v195, v255, s[16:19], 0 idxen            // 000000005458: E0502000 8004C3FF
	s_mul_i32 s60, 4, s7                                       // 000000005460: 923C0784
	s_cmp_lt_i32 2, s72                                        // 000000005464: BF044882
	s_cselect_b32 s60, s60, 0                                  // 000000005468: 853C803C
	v_add_u32_e32 v252, s60, v252                              // 00000000546C: 69F9F83C
	v_add_u32_e32 v253, s60, v253                              // 000000005470: 69FBFA3C
	v_add_u32_e32 v254, s60, v254                              // 000000005474: 69FDFC3C
	v_add_u32_e32 v255, s60, v255                              // 000000005478: 69FFFE3C
	buffer_load_dword v196, v252, s[16:19], 0 idxen            // 00000000547C: E0502000 8004C4FC
	buffer_load_dword v197, v253, s[16:19], 0 idxen            // 000000005484: E0502000 8004C5FD
	buffer_load_dword v198, v254, s[16:19], 0 idxen            // 00000000548C: E0502000 8004C6FE
	buffer_load_dword v199, v255, s[16:19], 0 idxen            // 000000005494: E0502000 8004C7FF
	s_mul_i32 s60, 4, s7                                       // 00000000549C: 923C0784
	s_cmp_lt_i32 3, s72                                        // 0000000054A0: BF044883
	s_cselect_b32 s60, s60, 0                                  // 0000000054A4: 853C803C
	v_add_u32_e32 v252, s60, v252                              // 0000000054A8: 69F9F83C
	v_add_u32_e32 v253, s60, v253                              // 0000000054AC: 69FBFA3C
	v_add_u32_e32 v254, s60, v254                              // 0000000054B0: 69FDFC3C
	v_add_u32_e32 v255, s60, v255                              // 0000000054B4: 69FFFE3C
	s_waitcnt lgkmcnt(0)                                       // 0000000054B8: BF8CC07F
	s_barrier                                                  // 0000000054BC: BF8A0000
	ds_read_b128 a[80:83], v23 offset:17408                    // 0000000054C0: DBFE4400 50000017
	ds_read_b128 a[84:87], v23 offset:17664                    // 0000000054C8: DBFE4500 54000017
	ds_read_b128 a[88:91], v23 offset:26112                    // 0000000054D0: DBFE6600 58000017
	ds_read_b128 a[92:95], v23 offset:26368                    // 0000000054D8: DBFE6700 5C000017
	ds_read_b128 a[32:35], v22                                 // 0000000054E0: DBFE0000 20000016
	ds_read_b128 a[36:39], v22 offset:512                      // 0000000054E8: DBFE0200 24000016
	ds_read_b128 a[40:43], v22 offset:2176                     // 0000000054F0: DBFE0880 28000016
	ds_read_b128 a[44:47], v22 offset:2688                     // 0000000054F8: DBFE0A80 2C000016
	s_waitcnt vmcnt(32) lgkmcnt(0)                             // 000000005500: BF8C8070
	s_barrier                                                  // 000000005504: BF8A0000
	s_cmp_lt_i32 0, s72                                        // 000000005508: BF044880
	s_cbranch_scc1 label_05D4                                  // 00000000550C: BF850010
	v_mov_b32_e32 v152, 0                                      // 000000005510: 7F300280
	v_mov_b32_e32 v153, 0                                      // 000000005514: 7F320280
	v_mov_b32_e32 v154, 0                                      // 000000005518: 7F340280
	v_mov_b32_e32 v155, 0                                      // 00000000551C: 7F360280
	v_mov_b32_e32 v156, 0                                      // 000000005520: 7F380280
	v_mov_b32_e32 v157, 0                                      // 000000005524: 7F3A0280
	v_mov_b32_e32 v158, 0                                      // 000000005528: 7F3C0280
	v_mov_b32_e32 v159, 0                                      // 00000000552C: 7F3E0280
	v_mov_b32_e32 v160, 0                                      // 000000005530: 7F400280
	v_mov_b32_e32 v161, 0                                      // 000000005534: 7F420280
	v_mov_b32_e32 v162, 0                                      // 000000005538: 7F440280
	v_mov_b32_e32 v163, 0                                      // 00000000553C: 7F460280
	v_mov_b32_e32 v164, 0                                      // 000000005540: 7F480280
	v_mov_b32_e32 v165, 0                                      // 000000005544: 7F4A0280
	v_mov_b32_e32 v166, 0                                      // 000000005548: 7F4C0280
	v_mov_b32_e32 v167, 0                                      // 00000000554C: 7F4E0280

0000000000005550 <label_05D4>:
	ds_write_b32 v11, v152                                     // 000000005550: D81A0000 0000980B
	ds_write_b32 v11, v153 offset:1056                         // 000000005558: D81A0420 0000990B
	ds_write_b32 v11, v154 offset:128                          // 000000005560: D81A0080 00009A0B
	ds_write_b32 v11, v155 offset:1184                         // 000000005568: D81A04A0 00009B0B
	ds_write_b32 v11, v156 offset:4352                         // 000000005570: D81A1100 00009C0B
	ds_write_b32 v11, v157 offset:5408                         // 000000005578: D81A1520 00009D0B
	ds_write_b32 v11, v158 offset:4480                         // 000000005580: D81A1180 00009E0B
	ds_write_b32 v11, v159 offset:5536                         // 000000005588: D81A15A0 00009F0B
	ds_write_b32 v11, v160 offset:8704                         // 000000005590: D81A2200 0000A00B
	ds_write_b32 v11, v161 offset:9760                         // 000000005598: D81A2620 0000A10B
	ds_write_b32 v11, v162 offset:8832                         // 0000000055A0: D81A2280 0000A20B
	ds_write_b32 v11, v163 offset:9888                         // 0000000055A8: D81A26A0 0000A30B
	ds_write_b32 v11, v164 offset:13056                        // 0000000055B0: D81A3300 0000A40B
	ds_write_b32 v11, v165 offset:14112                        // 0000000055B8: D81A3720 0000A50B
	ds_write_b32 v11, v166 offset:13184                        // 0000000055C0: D81A3380 0000A60B
	ds_write_b32 v11, v167 offset:14240                        // 0000000055C8: D81A37A0 0000A70B
	s_mov_b32 s71, s5                                          // 0000000055D0: BEC70005
	v_lshrrev_b32_e32 v28, 4, v0                               // 0000000055D4: 20380084
	v_and_b32_e32 v29, 1, v28                                  // 0000000055D8: 263A3881
	v_lshlrev_b32_e32 v29, 1, v29                              // 0000000055DC: 243A3A81
	v_mul_i32_i24_e32 v29, s71, v29                            // 0000000055E0: 0C3A3A47
	v_and_b32_e32 v30, 2, v28                                  // 0000000055E4: 263C3882
	v_lshlrev_b32_e32 v30, 5, v30                              // 0000000055E8: 243C3C85
	v_add_u32_e32 v29, v30, v29                                // 0000000055EC: 683A3B1E
	v_and_b32_e32 v28, 15, v0                                  // 0000000055F0: 2638008F
	v_lshlrev_b32_e32 v28, 2, v28                              // 0000000055F4: 24383882
	v_add_u32_e32 v1, v28, v29                                 // 0000000055F8: 68023B1C
	s_and_b32 s60, 1, s46                                      // 0000000055FC: 863C2E81
	s_mul_i32 s60, s60, s71                                    // 000000005600: 923C473C
	s_mul_i32 s60, s60, 8                                      // 000000005604: 923C883C
	s_lshr_b32 s61, s46, 1                                     // 000000005608: 8F3D812E
	s_mul_i32 s61, s61, 0x80                                   // 00000000560C: 923DFF3D 00000080
	s_add_u32 s60, s60, s61                                    // 000000005614: 803C3D3C
	v_add_u32_e32 v1, s60, v1                                  // 000000005618: 6802023C
	v_add_u32_e32 v2, s71, v1                                  // 00000000561C: 68040247
	s_mul_i32 s60, 4, s71                                      // 000000005620: 923C4784
	v_add_u32_e32 v3, s60, v1                                  // 000000005624: 6806023C
	v_add_u32_e32 v4, s60, v2                                  // 000000005628: 6808043C
	s_mov_b32 s71, s51                                         // 00000000562C: BEC70033
	v_lshrrev_b32_e32 v28, 4, v0                               // 000000005630: 20380084
	v_and_b32_e32 v29, 1, v28                                  // 000000005634: 263A3881
	v_lshlrev_b32_e32 v29, 1, v29                              // 000000005638: 243A3A81
	v_mul_i32_i24_e32 v29, s71, v29                            // 00000000563C: 0C3A3A47
	v_and_b32_e32 v30, 2, v28                                  // 000000005640: 263C3882
	v_lshlrev_b32_e32 v30, 5, v30                              // 000000005644: 243C3C85
	v_add_u32_e32 v29, v30, v29                                // 000000005648: 683A3B1E
	v_and_b32_e32 v28, 15, v0                                  // 00000000564C: 2638008F
	v_lshlrev_b32_e32 v28, 2, v28                              // 000000005650: 24383882
	v_add_u32_e32 v252, v28, v29                               // 000000005654: 69F83B1C
	s_and_b32 s60, 1, s46                                      // 000000005658: 863C2E81
	s_mul_i32 s60, s60, s71                                    // 00000000565C: 923C473C
	s_mul_i32 s60, s60, 8                                      // 000000005660: 923C883C
	s_lshr_b32 s61, s46, 1                                     // 000000005664: 8F3D812E
	s_mul_i32 s61, s61, 0x80                                   // 000000005668: 923DFF3D 00000080
	s_add_u32 s60, s60, s61                                    // 000000005670: 803C3D3C
	v_add_u32_e32 v252, s60, v252                              // 000000005674: 69F9F83C
	v_add_u32_e32 v253, s71, v252                              // 000000005678: 69FBF847
	s_mul_i32 s60, 4, s71                                      // 00000000567C: 923C4784
	v_add_u32_e32 v254, s60, v252                              // 000000005680: 69FDF83C
	v_add_u32_e32 v255, s60, v253                              // 000000005684: 69FFFA3C
	v_lshrrev_b32_e32 v1, 2, v1                                // 000000005688: 20020282
	v_lshrrev_b32_e32 v2, 2, v2                                // 00000000568C: 20040482
	v_lshrrev_b32_e32 v3, 2, v3                                // 000000005690: 20060682
	v_lshrrev_b32_e32 v4, 2, v4                                // 000000005694: 20080882
	v_lshrrev_b32_e32 v252, 2, v252                            // 000000005698: 21F9F882
	v_lshrrev_b32_e32 v253, 2, v253                            // 00000000569C: 21FBFA82
	v_lshrrev_b32_e32 v254, 2, v254                            // 0000000056A0: 21FDFC82
	v_lshrrev_b32_e32 v255, 2, v255                            // 0000000056A4: 21FFFE82
	buffer_load_dword v32, v1, s[8:11], 0 idxen                // 0000000056A8: E0502000 80022001
	buffer_load_dword v33, v2, s[8:11], 0 idxen                // 0000000056B0: E0502000 80022102
	buffer_load_dword v34, v3, s[8:11], 0 idxen                // 0000000056B8: E0502000 80022203
	buffer_load_dword v35, v4, s[8:11], 0 idxen                // 0000000056C0: E0502000 80022304
	buffer_load_dword v40, v252, s[20:23], 0 idxen             // 0000000056C8: E0502000 800528FC
	buffer_load_dword v41, v253, s[20:23], 0 idxen             // 0000000056D0: E0502000 800529FD
	buffer_load_dword v42, v254, s[20:23], 0 idxen             // 0000000056D8: E0502000 80052AFE
	buffer_load_dword v43, v255, s[20:23], 0 idxen             // 0000000056E0: E0502000 80052BFF
	s_waitcnt lgkmcnt(0)                                       // 0000000056E8: BF8CC07F
	s_barrier                                                  // 0000000056EC: BF8A0000
	ds_read_b128 a[96:99], v22                                 // 0000000056F0: DBFE0000 60000016
	ds_read_b128 a[100:103], v22 offset:512                    // 0000000056F8: DBFE0200 64000016
	ds_read_b128 a[104:107], v22 offset:2176                   // 000000005700: DBFE0880 68000016
	ds_read_b128 a[108:111], v22 offset:2688                   // 000000005708: DBFE0A80 6C000016
	v_add_u32_e32 v1, s68, v1                                  // 000000005710: 68020244
	v_add_u32_e32 v2, s68, v2                                  // 000000005714: 68040444
	;; [unrolled: 1-line block ×3, first 2 shown]
	v_add_u32_e32 v4, s68, v4                                  // 00000000571C: 68080844
	v_add_u32_e32 v252, s100, v252                             // 000000005720: 69F9F864
	v_add_u32_e32 v253, s100, v253                             // 000000005724: 69FBFA64
	v_add_u32_e32 v254, s100, v254                             // 000000005728: 69FDFC64
	v_add_u32_e32 v255, s100, v255                             // 00000000572C: 69FFFE64
	s_waitcnt vmcnt(24) lgkmcnt(0)                             // 000000005730: BF8C4078
	s_barrier                                                  // 000000005734: BF8A0000
	s_cmp_lt_i32 1, s72                                        // 000000005738: BF044881
	s_cbranch_scc1 label_0660                                  // 00000000573C: BF850010
	v_mov_b32_e32 v168, 0                                      // 000000005740: 7F500280
	v_mov_b32_e32 v169, 0                                      // 000000005744: 7F520280
	v_mov_b32_e32 v170, 0                                      // 000000005748: 7F540280
	v_mov_b32_e32 v171, 0                                      // 00000000574C: 7F560280
	v_mov_b32_e32 v172, 0                                      // 000000005750: 7F580280
	v_mov_b32_e32 v173, 0                                      // 000000005754: 7F5A0280
	v_mov_b32_e32 v174, 0                                      // 000000005758: 7F5C0280
	v_mov_b32_e32 v175, 0                                      // 00000000575C: 7F5E0280
	v_mov_b32_e32 v176, 0                                      // 000000005760: 7F600280
	v_mov_b32_e32 v177, 0                                      // 000000005764: 7F620280
	v_mov_b32_e32 v178, 0                                      // 000000005768: 7F640280
	v_mov_b32_e32 v179, 0                                      // 00000000576C: 7F660280
	v_mov_b32_e32 v180, 0                                      // 000000005770: 7F680280
	v_mov_b32_e32 v181, 0                                      // 000000005774: 7F6A0280
	v_mov_b32_e32 v182, 0                                      // 000000005778: 7F6C0280
	v_mov_b32_e32 v183, 0                                      // 00000000577C: 7F6E0280

0000000000005780 <label_0660>:
	ds_write_b32 v11, v168                                     // 000000005780: D81A0000 0000A80B
	ds_write_b32 v11, v169 offset:1056                         // 000000005788: D81A0420 0000A90B
	ds_write_b32 v11, v170 offset:128                          // 000000005790: D81A0080 0000AA0B
	ds_write_b32 v11, v171 offset:1184                         // 000000005798: D81A04A0 0000AB0B
	ds_write_b32 v11, v172 offset:4352                         // 0000000057A0: D81A1100 0000AC0B
	ds_write_b32 v11, v173 offset:5408                         // 0000000057A8: D81A1520 0000AD0B
	ds_write_b32 v11, v174 offset:4480                         // 0000000057B0: D81A1180 0000AE0B
	ds_write_b32 v11, v175 offset:5536                         // 0000000057B8: D81A15A0 0000AF0B
	ds_write_b32 v11, v176 offset:8704                         // 0000000057C0: D81A2200 0000B00B
	ds_write_b32 v11, v177 offset:9760                         // 0000000057C8: D81A2620 0000B10B
	ds_write_b32 v11, v178 offset:8832                         // 0000000057D0: D81A2280 0000B20B
	ds_write_b32 v11, v179 offset:9888                         // 0000000057D8: D81A26A0 0000B30B
	ds_write_b32 v11, v180 offset:13056                        // 0000000057E0: D81A3300 0000B40B
	ds_write_b32 v11, v181 offset:14112                        // 0000000057E8: D81A3720 0000B50B
	ds_write_b32 v11, v182 offset:13184                        // 0000000057F0: D81A3380 0000B60B
	ds_write_b32 v11, v183 offset:14240                        // 0000000057F8: D81A37A0 0000B70B
	buffer_load_dword v36, v1, s[8:11], 0 idxen                // 000000005800: E0502000 80022401
	buffer_load_dword v37, v2, s[8:11], 0 idxen                // 000000005808: E0502000 80022502
	;; [unrolled: 1-line block ×4, first 2 shown]
	buffer_load_dword v44, v252, s[20:23], 0 idxen             // 000000005820: E0502000 80052CFC
	buffer_load_dword v45, v253, s[20:23], 0 idxen             // 000000005828: E0502000 80052DFD
	buffer_load_dword v46, v254, s[20:23], 0 idxen             // 000000005830: E0502000 80052EFE
	buffer_load_dword v47, v255, s[20:23], 0 idxen             // 000000005838: E0502000 80052FFF
	s_waitcnt lgkmcnt(0)                                       // 000000005840: BF8CC07F
	s_barrier                                                  // 000000005844: BF8A0000
	ds_read_b128 a[112:115], v22                               // 000000005848: DBFE0000 70000016
	ds_read_b128 a[116:119], v22 offset:512                    // 000000005850: DBFE0200 74000016
	ds_read_b128 a[120:123], v22 offset:2176                   // 000000005858: DBFE0880 78000016
	ds_read_b128 a[124:127], v22 offset:2688                   // 000000005860: DBFE0A80 7C000016
	v_add_u32_e32 v1, s68, v1                                  // 000000005868: 68020244
	v_add_u32_e32 v2, s68, v2                                  // 00000000586C: 68040444
	v_add_u32_e32 v3, s68, v3                                  // 000000005870: 68060644
	v_add_u32_e32 v4, s68, v4                                  // 000000005874: 68080844
	v_add_u32_e32 v252, s100, v252                             // 000000005878: 69F9F864
	v_add_u32_e32 v253, s100, v253                             // 00000000587C: 69FBFA64
	v_add_u32_e32 v254, s100, v254                             // 000000005880: 69FDFC64
	v_add_u32_e32 v255, s100, v255                             // 000000005884: 69FFFE64
	s_waitcnt vmcnt(16) lgkmcnt(0)                             // 000000005888: BF8C4070
	s_barrier                                                  // 00000000588C: BF8A0000
	s_cmp_lt_i32 2, s72                                        // 000000005890: BF044882
	s_cbranch_scc1 label_06B6                                  // 000000005894: BF850010
	v_mov_b32_e32 v184, 0                                      // 000000005898: 7F700280
	v_mov_b32_e32 v185, 0                                      // 00000000589C: 7F720280
	v_mov_b32_e32 v186, 0                                      // 0000000058A0: 7F740280
	v_mov_b32_e32 v187, 0                                      // 0000000058A4: 7F760280
	v_mov_b32_e32 v188, 0                                      // 0000000058A8: 7F780280
	v_mov_b32_e32 v189, 0                                      // 0000000058AC: 7F7A0280
	v_mov_b32_e32 v190, 0                                      // 0000000058B0: 7F7C0280
	v_mov_b32_e32 v191, 0                                      // 0000000058B4: 7F7E0280
	v_mov_b32_e32 v192, 0                                      // 0000000058B8: 7F800280
	v_mov_b32_e32 v193, 0                                      // 0000000058BC: 7F820280
	v_mov_b32_e32 v194, 0                                      // 0000000058C0: 7F840280
	v_mov_b32_e32 v195, 0                                      // 0000000058C4: 7F860280
	v_mov_b32_e32 v196, 0                                      // 0000000058C8: 7F880280
	v_mov_b32_e32 v197, 0                                      // 0000000058CC: 7F8A0280
	v_mov_b32_e32 v198, 0                                      // 0000000058D0: 7F8C0280
	v_mov_b32_e32 v199, 0                                      // 0000000058D4: 7F8E0280

00000000000058d8 <label_06B6>:
	ds_write_b32 v11, v184                                     // 0000000058D8: D81A0000 0000B80B
	ds_write_b32 v11, v185 offset:1056                         // 0000000058E0: D81A0420 0000B90B
	ds_write_b32 v11, v186 offset:128                          // 0000000058E8: D81A0080 0000BA0B
	ds_write_b32 v11, v187 offset:1184                         // 0000000058F0: D81A04A0 0000BB0B
	ds_write_b32 v11, v188 offset:4352                         // 0000000058F8: D81A1100 0000BC0B
	ds_write_b32 v11, v189 offset:5408                         // 000000005900: D81A1520 0000BD0B
	ds_write_b32 v11, v190 offset:4480                         // 000000005908: D81A1180 0000BE0B
	ds_write_b32 v11, v191 offset:5536                         // 000000005910: D81A15A0 0000BF0B
	ds_write_b32 v11, v192 offset:8704                         // 000000005918: D81A2200 0000C00B
	ds_write_b32 v11, v193 offset:9760                         // 000000005920: D81A2620 0000C10B
	ds_write_b32 v11, v194 offset:8832                         // 000000005928: D81A2280 0000C20B
	ds_write_b32 v11, v195 offset:9888                         // 000000005930: D81A26A0 0000C30B
	ds_write_b32 v11, v196 offset:13056                        // 000000005938: D81A3300 0000C40B
	ds_write_b32 v11, v197 offset:14112                        // 000000005940: D81A3720 0000C50B
	ds_write_b32 v11, v198 offset:13184                        // 000000005948: D81A3380 0000C60B
	ds_write_b32 v11, v199 offset:14240                        // 000000005950: D81A37A0 0000C70B
	s_waitcnt lgkmcnt(0)                                       // 000000005958: BF8CC07F
	s_barrier                                                  // 00000000595C: BF8A0000
	ds_read_b128 a[128:131], v22                               // 000000005960: DBFE0000 80000016
	ds_read_b128 a[132:135], v22 offset:512                    // 000000005968: DBFE0200 84000016
	ds_read_b128 a[136:139], v22 offset:2176                   // 000000005970: DBFE0880 88000016
	ds_read_b128 a[140:143], v22 offset:2688                   // 000000005978: DBFE0A80 8C000016
	s_waitcnt vmcnt(8) lgkmcnt(0)                              // 000000005980: BF8C0078
	s_barrier                                                  // 000000005984: BF8A0000
	buffer_load_dword v9, s[24:27], 0 idxen lds                // 000000005988: E0512000 80060009
	s_mov_b32 m0, s81                                          // 000000005990: BEFC0051
	v_add_u32_e32 v9, s69, v9                                  // 000000005994: 68121245
	v_perm_b32 v84, v33, v32, s63                              // 000000005998: D1ED0054 00FE4121
	v_perm_b32 v85, v33, v32, s64                              // 0000000059A0: D1ED0055 01024121
	v_perm_b32 v86, v35, v34, s63                              // 0000000059A8: D1ED0056 00FE4523
	v_perm_b32 v87, v35, v34, s64                              // 0000000059B0: D1ED0057 01024523
	ds_write_b32 v13, v84 offset:4352                          // 0000000059B8: D81A1100 0000540D
	ds_write_b32 v13, v85 offset:5408                          // 0000000059C0: D81A1520 0000550D
	ds_write_b32 v13, v86 offset:4480                          // 0000000059C8: D81A1180 0000560D
	ds_write_b32 v13, v87 offset:5536                          // 0000000059D0: D81A15A0 0000570D
	ds_write_b32 v11, v32                                      // 0000000059D8: D81A0000 0000200B
	ds_write_b32 v11, v33 offset:1056                          // 0000000059E0: D81A0420 0000210B
	ds_write_b32 v11, v34 offset:128                           // 0000000059E8: D81A0080 0000220B
	ds_write_b32 v11, v35 offset:1184                          // 0000000059F0: D81A04A0 0000230B
	buffer_load_dword v9, s[24:27], 0 idxen lds                // 0000000059F8: E0512000 80060009
	s_mov_b32 m0, s80                                          // 000000005A00: BEFC0050
	v_add_u32_e32 v9, s69, v9                                  // 000000005A04: 68121245
	v_perm_b32 v88, v41, v40, s63                              // 000000005A08: D1ED0058 00FE5129
	v_perm_b32 v89, v41, v40, s64                              // 000000005A10: D1ED0059 01025129
	v_perm_b32 v90, v43, v42, s63                              // 000000005A18: D1ED005A 00FE552B
	v_perm_b32 v91, v43, v42, s64                              // 000000005A20: D1ED005B 0102552B
	ds_write_b32 v13, v88 offset:13056                         // 000000005A28: D81A3300 0000580D
	ds_write_b32 v13, v89 offset:14112                         // 000000005A30: D81A3720 0000590D
	ds_write_b32 v13, v90 offset:13184                         // 000000005A38: D81A3380 00005A0D
	ds_write_b32 v13, v91 offset:14240                         // 000000005A40: D81A37A0 00005B0D
	ds_write_b32 v11, v40 offset:8704                          // 000000005A48: D81A2200 0000280B
	ds_write_b32 v11, v41 offset:9760                          // 000000005A50: D81A2620 0000290B
	ds_write_b32 v11, v42 offset:8832                          // 000000005A58: D81A2280 00002A0B
	ds_write_b32 v11, v43 offset:9888                          // 000000005A60: D81A26A0 00002B0B
	s_waitcnt vmcnt(1) lgkmcnt(0)                              // 000000005A68: BF8C0071
	s_barrier                                                  // 000000005A6C: BF8A0000
	ds_read_b128 a[144:147], v10                               // 000000005A70: DBFE0000 9000000A
	ds_read_b128 a[148:151], v10 offset:512                    // 000000005A78: DBFE0200 9400000A
	ds_read_b128 a[152:155], v10 offset:2176                   // 000000005A80: DBFE0880 9800000A
	ds_read_b128 a[156:159], v10 offset:2688                   // 000000005A88: DBFE0A80 9C00000A
	ds_read_b128 v[92:95], v10 offset:8704                     // 000000005A90: D9FE2200 5C00000A
	ds_read_b128 v[96:99], v10 offset:9216                     // 000000005A98: D9FE2400 6000000A
	ds_read_b128 v[100:103], v10 offset:10880                  // 000000005AA0: D9FE2A80 6400000A
	ds_read_b128 v[104:107], v10 offset:11392                  // 000000005AA8: D9FE2C80 6800000A
	ds_read_b32 v124, v21 offset:50688                         // 000000005AB0: D86CC600 7C000015
	ds_read_b32 v150, v21 offset:50944                         // 000000005AB8: D86CC700 96000015
	v_accvgpr_write_b32 a160, 0                                // 000000005AC0: D3D940A0 18000080
	v_mov_b32_e32 v152, 0                                      // 000000005AC8: 7F300280
	v_accvgpr_write_b32 a161, 0                                // 000000005ACC: D3D940A1 18000080
	v_mov_b32_e32 v153, 0                                      // 000000005AD4: 7F320280
	v_accvgpr_write_b32 a162, 0                                // 000000005AD8: D3D940A2 18000080
	v_mov_b32_e32 v154, 0                                      // 000000005AE0: 7F340280
	v_accvgpr_write_b32 a163, 0                                // 000000005AE4: D3D940A3 18000080
	v_mov_b32_e32 v155, 0                                      // 000000005AEC: 7F360280
	v_accvgpr_write_b32 a164, 0                                // 000000005AF0: D3D940A4 18000080
	v_mov_b32_e32 v156, 0                                      // 000000005AF8: 7F380280
	v_accvgpr_write_b32 a165, 0                                // 000000005AFC: D3D940A5 18000080
	v_mov_b32_e32 v157, 0                                      // 000000005B04: 7F3A0280
	v_accvgpr_write_b32 a166, 0                                // 000000005B08: D3D940A6 18000080
	v_mov_b32_e32 v158, 0                                      // 000000005B10: 7F3C0280
	v_accvgpr_write_b32 a167, 0                                // 000000005B14: D3D940A7 18000080
	v_mov_b32_e32 v159, 0                                      // 000000005B1C: 7F3E0280
	v_accvgpr_write_b32 a168, 0                                // 000000005B20: D3D940A8 18000080
	v_mov_b32_e32 v160, 0                                      // 000000005B28: 7F400280
	v_accvgpr_write_b32 a169, 0                                // 000000005B2C: D3D940A9 18000080
	v_mov_b32_e32 v161, 0                                      // 000000005B34: 7F420280
	v_accvgpr_write_b32 a170, 0                                // 000000005B38: D3D940AA 18000080
	v_mov_b32_e32 v162, 0                                      // 000000005B40: 7F440280
	v_accvgpr_write_b32 a171, 0                                // 000000005B44: D3D940AB 18000080
	v_mov_b32_e32 v163, 0                                      // 000000005B4C: 7F460280
	v_accvgpr_write_b32 a172, 0                                // 000000005B50: D3D940AC 18000080
	v_mov_b32_e32 v164, 0                                      // 000000005B58: 7F480280
	v_accvgpr_write_b32 a173, 0                                // 000000005B5C: D3D940AD 18000080
	v_mov_b32_e32 v165, 0                                      // 000000005B64: 7F4A0280
	v_accvgpr_write_b32 a174, 0                                // 000000005B68: D3D940AE 18000080
	v_mov_b32_e32 v166, 0                                      // 000000005B70: 7F4C0280
	v_accvgpr_write_b32 a175, 0                                // 000000005B74: D3D940AF 18000080
	v_mov_b32_e32 v167, 0                                      // 000000005B7C: 7F4E0280
	v_accvgpr_write_b32 a176, 0                                // 000000005B80: D3D940B0 18000080
	v_mov_b32_e32 v168, 0                                      // 000000005B88: 7F500280
	v_accvgpr_write_b32 a177, 0                                // 000000005B8C: D3D940B1 18000080
	v_mov_b32_e32 v169, 0                                      // 000000005B94: 7F520280
	v_accvgpr_write_b32 a178, 0                                // 000000005B98: D3D940B2 18000080
	v_mov_b32_e32 v170, 0                                      // 000000005BA0: 7F540280
	v_accvgpr_write_b32 a179, 0                                // 000000005BA4: D3D940B3 18000080
	v_mov_b32_e32 v171, 0                                      // 000000005BAC: 7F560280
	v_accvgpr_write_b32 a180, 0                                // 000000005BB0: D3D940B4 18000080
	v_mov_b32_e32 v172, 0                                      // 000000005BB8: 7F580280
	v_accvgpr_write_b32 a181, 0                                // 000000005BBC: D3D940B5 18000080
	v_mov_b32_e32 v173, 0                                      // 000000005BC4: 7F5A0280
	v_accvgpr_write_b32 a182, 0                                // 000000005BC8: D3D940B6 18000080
	v_mov_b32_e32 v174, 0                                      // 000000005BD0: 7F5C0280
	v_accvgpr_write_b32 a183, 0                                // 000000005BD4: D3D940B7 18000080
	v_mov_b32_e32 v175, 0                                      // 000000005BDC: 7F5E0280
	v_accvgpr_write_b32 a184, 0                                // 000000005BE0: D3D940B8 18000080
	v_mov_b32_e32 v176, 0                                      // 000000005BE8: 7F600280
	v_accvgpr_write_b32 a185, 0                                // 000000005BEC: D3D940B9 18000080
	v_mov_b32_e32 v177, 0                                      // 000000005BF4: 7F620280
	v_accvgpr_write_b32 a186, 0                                // 000000005BF8: D3D940BA 18000080
	v_mov_b32_e32 v178, 0                                      // 000000005C00: 7F640280
	v_accvgpr_write_b32 a187, 0                                // 000000005C04: D3D940BB 18000080
	v_mov_b32_e32 v179, 0                                      // 000000005C0C: 7F660280
	v_accvgpr_write_b32 a188, 0                                // 000000005C10: D3D940BC 18000080
	v_mov_b32_e32 v180, 0                                      // 000000005C18: 7F680280
	v_accvgpr_write_b32 a189, 0                                // 000000005C1C: D3D940BD 18000080
	v_mov_b32_e32 v181, 0                                      // 000000005C24: 7F6A0280
	v_accvgpr_write_b32 a190, 0                                // 000000005C28: D3D940BE 18000080
	v_mov_b32_e32 v182, 0                                      // 000000005C30: 7F6C0280
	v_accvgpr_write_b32 a191, 0                                // 000000005C34: D3D940BF 18000080
	v_mov_b32_e32 v183, 0                                      // 000000005C3C: 7F6E0280
	v_accvgpr_write_b32 a192, 0                                // 000000005C40: D3D940C0 18000080
	v_mov_b32_e32 v184, 0                                      // 000000005C48: 7F700280
	v_accvgpr_write_b32 a193, 0                                // 000000005C4C: D3D940C1 18000080
	v_mov_b32_e32 v185, 0                                      // 000000005C54: 7F720280
	v_accvgpr_write_b32 a194, 0                                // 000000005C58: D3D940C2 18000080
	v_mov_b32_e32 v186, 0                                      // 000000005C60: 7F740280
	v_accvgpr_write_b32 a195, 0                                // 000000005C64: D3D940C3 18000080
	v_mov_b32_e32 v187, 0                                      // 000000005C6C: 7F760280
	v_accvgpr_write_b32 a196, 0                                // 000000005C70: D3D940C4 18000080
	v_mov_b32_e32 v188, 0                                      // 000000005C78: 7F780280
	v_accvgpr_write_b32 a197, 0                                // 000000005C7C: D3D940C5 18000080
	v_mov_b32_e32 v189, 0                                      // 000000005C84: 7F7A0280
	v_accvgpr_write_b32 a198, 0                                // 000000005C88: D3D940C6 18000080
	v_mov_b32_e32 v190, 0                                      // 000000005C90: 7F7C0280
	v_accvgpr_write_b32 a199, 0                                // 000000005C94: D3D940C7 18000080
	v_mov_b32_e32 v191, 0                                      // 000000005C9C: 7F7E0280
	v_accvgpr_write_b32 a200, 0                                // 000000005CA0: D3D940C8 18000080
	v_mov_b32_e32 v192, 0                                      // 000000005CA8: 7F800280
	v_accvgpr_write_b32 a201, 0                                // 000000005CAC: D3D940C9 18000080
	v_mov_b32_e32 v193, 0                                      // 000000005CB4: 7F820280
	v_accvgpr_write_b32 a202, 0                                // 000000005CB8: D3D940CA 18000080
	v_mov_b32_e32 v194, 0                                      // 000000005CC0: 7F840280
	v_accvgpr_write_b32 a203, 0                                // 000000005CC4: D3D940CB 18000080
	v_mov_b32_e32 v195, 0                                      // 000000005CCC: 7F860280
	v_accvgpr_write_b32 a204, 0                                // 000000005CD0: D3D940CC 18000080
	v_mov_b32_e32 v196, 0                                      // 000000005CD8: 7F880280
	v_accvgpr_write_b32 a205, 0                                // 000000005CDC: D3D940CD 18000080
	v_mov_b32_e32 v197, 0                                      // 000000005CE4: 7F8A0280
	v_accvgpr_write_b32 a206, 0                                // 000000005CE8: D3D940CE 18000080
	v_mov_b32_e32 v198, 0                                      // 000000005CF0: 7F8C0280
	v_accvgpr_write_b32 a207, 0                                // 000000005CF4: D3D940CF 18000080
	v_mov_b32_e32 v199, 0                                      // 000000005CFC: 7F8E0280
	v_accvgpr_write_b32 a208, 0                                // 000000005D00: D3D940D0 18000080
	v_mov_b32_e32 v200, 0                                      // 000000005D08: 7F900280
	v_accvgpr_write_b32 a209, 0                                // 000000005D0C: D3D940D1 18000080
	v_mov_b32_e32 v201, 0                                      // 000000005D14: 7F920280
	v_accvgpr_write_b32 a210, 0                                // 000000005D18: D3D940D2 18000080
	v_mov_b32_e32 v202, 0                                      // 000000005D20: 7F940280
	v_accvgpr_write_b32 a211, 0                                // 000000005D24: D3D940D3 18000080
	v_mov_b32_e32 v203, 0                                      // 000000005D2C: 7F960280
	v_accvgpr_write_b32 a212, 0                                // 000000005D30: D3D940D4 18000080
	v_mov_b32_e32 v204, 0                                      // 000000005D38: 7F980280
	v_accvgpr_write_b32 a213, 0                                // 000000005D3C: D3D940D5 18000080
	v_mov_b32_e32 v205, 0                                      // 000000005D44: 7F9A0280
	v_accvgpr_write_b32 a214, 0                                // 000000005D48: D3D940D6 18000080
	v_mov_b32_e32 v206, 0                                      // 000000005D50: 7F9C0280
	v_accvgpr_write_b32 a215, 0                                // 000000005D54: D3D940D7 18000080
	v_mov_b32_e32 v207, 0                                      // 000000005D5C: 7F9E0280
	v_accvgpr_write_b32 a216, 0                                // 000000005D60: D3D940D8 18000080
	v_mov_b32_e32 v208, 0                                      // 000000005D68: 7FA00280
	v_accvgpr_write_b32 a217, 0                                // 000000005D6C: D3D940D9 18000080
	v_mov_b32_e32 v209, 0                                      // 000000005D74: 7FA20280
	v_accvgpr_write_b32 a218, 0                                // 000000005D78: D3D940DA 18000080
	v_mov_b32_e32 v210, 0                                      // 000000005D80: 7FA40280
	v_accvgpr_write_b32 a219, 0                                // 000000005D84: D3D940DB 18000080
	v_mov_b32_e32 v211, 0                                      // 000000005D8C: 7FA60280
	v_accvgpr_write_b32 a220, 0                                // 000000005D90: D3D940DC 18000080
	v_mov_b32_e32 v212, 0                                      // 000000005D98: 7FA80280
	v_accvgpr_write_b32 a221, 0                                // 000000005D9C: D3D940DD 18000080
	v_mov_b32_e32 v213, 0                                      // 000000005DA4: 7FAA0280
	v_accvgpr_write_b32 a222, 0                                // 000000005DA8: D3D940DE 18000080
	v_mov_b32_e32 v214, 0                                      // 000000005DB0: 7FAC0280
	v_accvgpr_write_b32 a223, 0                                // 000000005DB4: D3D940DF 18000080
	v_mov_b32_e32 v215, 0                                      // 000000005DBC: 7FAE0280
	v_accvgpr_write_b32 a224, 0                                // 000000005DC0: D3D940E0 18000080
	v_mov_b32_e32 v216, 0                                      // 000000005DC8: 7FB00280
	v_accvgpr_write_b32 a225, 0                                // 000000005DCC: D3D940E1 18000080
	v_mov_b32_e32 v217, 0                                      // 000000005DD4: 7FB20280
	v_accvgpr_write_b32 a226, 0                                // 000000005DD8: D3D940E2 18000080
	v_mov_b32_e32 v218, 0                                      // 000000005DE0: 7FB40280
	v_accvgpr_write_b32 a227, 0                                // 000000005DE4: D3D940E3 18000080
	v_mov_b32_e32 v219, 0                                      // 000000005DEC: 7FB60280
	v_accvgpr_write_b32 a228, 0                                // 000000005DF0: D3D940E4 18000080
	v_mov_b32_e32 v220, 0                                      // 000000005DF8: 7FB80280
	v_accvgpr_write_b32 a229, 0                                // 000000005DFC: D3D940E5 18000080
	v_mov_b32_e32 v221, 0                                      // 000000005E04: 7FBA0280
	v_accvgpr_write_b32 a230, 0                                // 000000005E08: D3D940E6 18000080
	v_mov_b32_e32 v222, 0                                      // 000000005E10: 7FBC0280
	v_accvgpr_write_b32 a231, 0                                // 000000005E14: D3D940E7 18000080
	v_mov_b32_e32 v223, 0                                      // 000000005E1C: 7FBE0280
	v_accvgpr_write_b32 a232, 0                                // 000000005E20: D3D940E8 18000080
	v_mov_b32_e32 v224, 0                                      // 000000005E28: 7FC00280
	v_accvgpr_write_b32 a233, 0                                // 000000005E2C: D3D940E9 18000080
	v_mov_b32_e32 v225, 0                                      // 000000005E34: 7FC20280
	v_accvgpr_write_b32 a234, 0                                // 000000005E38: D3D940EA 18000080
	v_mov_b32_e32 v226, 0                                      // 000000005E40: 7FC40280
	v_accvgpr_write_b32 a235, 0                                // 000000005E44: D3D940EB 18000080
	v_mov_b32_e32 v227, 0                                      // 000000005E4C: 7FC60280
	v_accvgpr_write_b32 a236, 0                                // 000000005E50: D3D940EC 18000080
	v_mov_b32_e32 v228, 0                                      // 000000005E58: 7FC80280
	v_accvgpr_write_b32 a237, 0                                // 000000005E5C: D3D940ED 18000080
	v_mov_b32_e32 v229, 0                                      // 000000005E64: 7FCA0280
	v_accvgpr_write_b32 a238, 0                                // 000000005E68: D3D940EE 18000080
	v_mov_b32_e32 v230, 0                                      // 000000005E70: 7FCC0280
	v_accvgpr_write_b32 a239, 0                                // 000000005E74: D3D940EF 18000080
	v_mov_b32_e32 v231, 0                                      // 000000005E7C: 7FCE0280
	v_accvgpr_write_b32 a240, 0                                // 000000005E80: D3D940F0 18000080
	v_mov_b32_e32 v232, 0                                      // 000000005E88: 7FD00280
	v_accvgpr_write_b32 a241, 0                                // 000000005E8C: D3D940F1 18000080
	v_mov_b32_e32 v233, 0                                      // 000000005E94: 7FD20280
	v_accvgpr_write_b32 a242, 0                                // 000000005E98: D3D940F2 18000080
	v_mov_b32_e32 v234, 0                                      // 000000005EA0: 7FD40280
	v_accvgpr_write_b32 a243, 0                                // 000000005EA4: D3D940F3 18000080
	v_mov_b32_e32 v235, 0                                      // 000000005EAC: 7FD60280
	v_accvgpr_write_b32 a244, 0                                // 000000005EB0: D3D940F4 18000080
	v_mov_b32_e32 v236, 0                                      // 000000005EB8: 7FD80280
	v_accvgpr_write_b32 a245, 0                                // 000000005EBC: D3D940F5 18000080
	v_mov_b32_e32 v237, 0                                      // 000000005EC4: 7FDA0280
	v_accvgpr_write_b32 a246, 0                                // 000000005EC8: D3D940F6 18000080
	v_mov_b32_e32 v238, 0                                      // 000000005ED0: 7FDC0280
	v_accvgpr_write_b32 a247, 0                                // 000000005ED4: D3D940F7 18000080
	v_mov_b32_e32 v239, 0                                      // 000000005EDC: 7FDE0280
	v_accvgpr_write_b32 a248, 0                                // 000000005EE0: D3D940F8 18000080
	v_mov_b32_e32 v240, 0                                      // 000000005EE8: 7FE00280
	v_accvgpr_write_b32 a249, 0                                // 000000005EEC: D3D940F9 18000080
	v_mov_b32_e32 v241, 0                                      // 000000005EF4: 7FE20280
	v_accvgpr_write_b32 a250, 0                                // 000000005EF8: D3D940FA 18000080
	v_mov_b32_e32 v242, 0                                      // 000000005F00: 7FE40280
	v_accvgpr_write_b32 a251, 0                                // 000000005F04: D3D940FB 18000080
	v_mov_b32_e32 v243, 0                                      // 000000005F0C: 7FE60280
	v_accvgpr_write_b32 a252, 0                                // 000000005F10: D3D940FC 18000080
	v_mov_b32_e32 v244, 0                                      // 000000005F18: 7FE80280
	v_accvgpr_write_b32 a253, 0                                // 000000005F1C: D3D940FD 18000080
	v_mov_b32_e32 v245, 0                                      // 000000005F24: 7FEA0280
	v_accvgpr_write_b32 a254, 0                                // 000000005F28: D3D940FE 18000080
	v_mov_b32_e32 v246, 0                                      // 000000005F30: 7FEC0280
	v_accvgpr_write_b32 a255, 0                                // 000000005F34: D3D940FF 18000080
	v_mov_b32_e32 v247, 0                                      // 000000005F3C: 7FEE0280
	v_mov_b32_e32 v136, 0                                      // 000000005F40: 7F100280
	v_mov_b32_e32 v137, 0                                      // 000000005F44: 7F120280
	v_mov_b32_e32 v138, 0                                      // 000000005F48: 7F140280
	v_mov_b32_e32 v139, 0                                      // 000000005F4C: 7F160280
	v_mov_b32_e32 v140, 0                                      // 000000005F50: 7F180280
	v_mov_b32_e32 v141, 0                                      // 000000005F54: 7F1A0280
	v_mov_b32_e32 v142, 0                                      // 000000005F58: 7F1C0280
	v_mov_b32_e32 v143, 0                                      // 000000005F5C: 7F1E0280
	v_mov_b32_e32 v128, 0                                      // 000000005F60: 7F000280
	v_mov_b32_e32 v129, 0                                      // 000000005F64: 7F020280
	v_mov_b32_e32 v130, 0                                      // 000000005F68: 7F040280
	v_mov_b32_e32 v131, 0                                      // 000000005F6C: 7F060280
	v_mov_b32_e32 v132, 0                                      // 000000005F70: 7F080280
	v_mov_b32_e32 v133, 0                                      // 000000005F74: 7F0A0280
	v_mov_b32_e32 v134, 0                                      // 000000005F78: 7F0C0280
	v_mov_b32_e32 v135, 0                                      // 000000005F7C: 7F0E0280
	s_waitcnt lgkmcnt(0)                                       // 000000005F80: BF8CC07F
	s_barrier                                                  // 000000005F84: BF8A0000
	buffer_load_dword v32, v1, s[8:11], 0 idxen                // 000000005F88: E0502000 80022001
	buffer_load_dword v33, v2, s[8:11], 0 idxen                // 000000005F90: E0502000 80022102
	buffer_load_dword v34, v3, s[8:11], 0 idxen                // 000000005F98: E0502000 80022203
	buffer_load_dword v35, v4, s[8:11], 0 idxen                // 000000005FA0: E0502000 80022304
	buffer_load_dword v40, v252, s[20:23], 0 idxen             // 000000005FA8: E0502000 800528FC
	buffer_load_dword v41, v253, s[20:23], 0 idxen             // 000000005FB0: E0502000 800529FD
	buffer_load_dword v42, v254, s[20:23], 0 idxen             // 000000005FB8: E0502000 80052AFE
	buffer_load_dword v43, v255, s[20:23], 0 idxen             // 000000005FC0: E0502000 80052BFF
	buffer_load_dword v9, s[24:27], 0 idxen lds                // 000000005FC8: E0512000 80060009
	s_mov_b32 m0, s81                                          // 000000005FD0: BEFC0051
	v_add_u32_e32 v9, s69, v9                                  // 000000005FD4: 68121245
	v_add_u32_e32 v1, s68, v1                                  // 000000005FD8: 68020244
	v_add_u32_e32 v2, s68, v2                                  // 000000005FDC: 68040444
	v_add_u32_e32 v3, s68, v3                                  // 000000005FE0: 68060644
	v_add_u32_e32 v4, s68, v4                                  // 000000005FE4: 68080844
	v_add_u32_e32 v252, s100, v252                             // 000000005FE8: 69F9F864
	v_add_u32_e32 v253, s100, v253                             // 000000005FEC: 69FBFA64
	v_add_u32_e32 v254, s100, v254                             // 000000005FF0: 69FDFC64
	v_add_u32_e32 v255, s100, v255                             // 000000005FF4: 69FFFE64
	v_mul_f32_e32 v124, s48, v124                              // 000000005FF8: 0AF8F830
	v_perm_b32 v84, v37, v36, s63                              // 000000005FFC: D1ED0054 00FE4925
	v_perm_b32 v85, v37, v36, s64                              // 000000006004: D1ED0055 01024925
	v_perm_b32 v86, v39, v38, s63                              // 00000000600C: D1ED0056 00FE4D27
	v_perm_b32 v87, v39, v38, s64                              // 000000006014: D1ED0057 01024D27
	v_perm_b32 v88, v45, v44, s63                              // 00000000601C: D1ED0058 00FE592D
	v_perm_b32 v89, v45, v44, s64                              // 000000006024: D1ED0059 0102592D
	v_perm_b32 v90, v47, v46, s63                              // 00000000602C: D1ED005A 00FE5D2F
	v_perm_b32 v91, v47, v46, s64                              // 000000006034: D1ED005B 01025D2F
	v_mov_b32_dpp v127, v124 quad_perm:[3,3,3,3] row_mask:0xf bank_mask:0xf// 00000000603C: 7EFE02FA FF00FF7C
	v_mov_b32_dpp v126, v124 quad_perm:[2,2,2,2] row_mask:0xf bank_mask:0xf// 000000006044: 7EFC02FA FF00AA7C
	v_mov_b32_dpp v125, v124 quad_perm:[1,1,1,1] row_mask:0xf bank_mask:0xf// 00000000604C: 7EFA02FA FF00557C
	v_mov_b32_dpp v124, v124 quad_perm:[0,0,0,0] row_mask:0xf bank_mask:0xf// 000000006054: 7EF802FA FF00007C
	s_waitcnt vmcnt(9)                                         // 00000000605C: BF8C0F79
	s_barrier                                                  // 000000006060: BF8A0000
	s_cmp_lt_i32 s46, 2                                        // 000000006064: BF04822E
	s_cbranch_scc0 label_0F69                                  // 000000006068: BF8406C4
	s_nop 0                                                    // 00000000606C: BF800000
	s_nop 0                                                    // 000000006070: BF800000

0000000000006074 <label_089D>:
	s_waitcnt lgkmcnt(0)                                       // 000000006074: BF8CC07F
	s_barrier                                                  // 000000006078: BF8A0000
	v_mfma_f32_16x16x16_bf16 v[48:51], a[144:145], a[0:1], 0   // 00000000607C: D3E10030 1A020190
	ds_write_b32 v11, v44 offset:8704                          // 000000006084: D81A2200 00002C0B
	ds_write_b32 v11, v45 offset:9760                          // 00000000608C: D81A2620 00002D0B
	v_mfma_f32_16x16x16_bf16 v[48:51], a[146:147], a[2:3], v[48:51]// 000000006094: D3E10030 1CC20592
	v_mul_f32_e32 v128, s47, v128                              // 00000000609C: 0B01002F
	v_mul_f32_e32 v129, s47, v129                              // 0000000060A0: 0B03022F
	v_mfma_f32_16x16x16_bf16 v[48:51], a[148:149], a[4:5], v[48:51]// 0000000060A4: D3E10030 1CC20994
	ds_write_b32 v11, v46 offset:8832                          // 0000000060AC: D81A2280 00002E0B
	ds_write_b32 v11, v47 offset:9888                          // 0000000060B4: D81A26A0 00002F0B
	v_mfma_f32_16x16x16_bf16 v[48:51], a[150:151], a[6:7], v[48:51]// 0000000060BC: D3E10030 1CC20D96
	v_mul_f32_e32 v130, s47, v130                              // 0000000060C4: 0B05042F
	v_mul_f32_e32 v131, s47, v131                              // 0000000060C8: 0B07062F
	v_mfma_f32_16x16x16_bf16 v[48:51], a[152:153], a[8:9], v[48:51]// 0000000060CC: D3E10030 1CC21198
	ds_write_b64 v20, v[128:129] offset:24320                  // 0000000060D4: D89A5F00 00008014
	v_mfma_f32_16x16x16_bf16 v[48:51], a[154:155], a[10:11], v[48:51]// 0000000060DC: D3E10030 1CC2159A
	v_mul_f32_e32 v132, s47, v132                              // 0000000060E4: 0B09082F
	v_mul_f32_e32 v133, s47, v133                              // 0000000060E8: 0B0B0A2F
	v_mfma_f32_16x16x16_bf16 v[48:51], a[156:157], a[12:13], v[48:51]// 0000000060EC: D3E10030 1CC2199C
	ds_write_b64 v20, v[130:131] offset:24832                  // 0000000060F4: D89A6100 00008214
	v_mfma_f32_16x16x16_bf16 v[48:51], a[158:159], a[14:15], v[48:51]// 0000000060FC: D3E10030 1CC21D9E
	v_mul_f32_e32 v134, s47, v134                              // 000000006104: 0B0D0C2F
	v_mul_f32_e32 v135, s47, v135                              // 000000006108: 0B0F0E2F
	v_mfma_f32_16x16x16_bf16 v[52:55], a[144:145], a[16:17], 0 // 00000000610C: D3E10034 1A022190
	ds_write_b64 v20, v[132:133] offset:25344                  // 000000006114: D89A6300 00008414
	v_mfma_f32_16x16x16_bf16 v[52:55], a[146:147], a[18:19], v[52:55]// 00000000611C: D3E10034 1CD22592
	buffer_atomic_add_f32 v140, v7, s[32:35], 0 offen offset:256// 000000006124: E1341100 80088C07
	v_mfma_f32_16x16x16_bf16 v[52:55], a[148:149], a[20:21], v[52:55]// 00000000612C: D3E10034 1CD22994
	ds_write_b64 v20, v[134:135] offset:25856                  // 000000006134: D89A6500 00008614
	v_mfma_f32_16x16x16_bf16 v[52:55], a[150:151], a[22:23], v[52:55]// 00000000613C: D3E10034 1CD22D96
	v_mfma_f32_16x16x16_bf16 v[52:55], a[152:153], a[24:25], v[52:55]// 000000006144: D3E10034 1CD23198
	ds_read_b128 v[108:111], v12 offset:13056                  // 00000000614C: D9FE3300 6C00000C
	ds_write_b32 v11, v36                                      // 000000006154: D81A0000 0000240B
	v_mfma_f32_16x16x16_bf16 v[52:55], a[154:155], a[26:27], v[52:55]// 00000000615C: D3E10034 1CD2359A
	buffer_atomic_add_f32 v141, v8, s[32:35], 0 offen offset:256// 000000006164: E1341100 80088D08
	v_mfma_f32_16x16x16_bf16 v[52:55], a[156:157], a[28:29], v[52:55]// 00000000616C: D3E10034 1CD2399C
	v_mfma_f32_16x16x16_bf16 v[52:55], a[158:159], a[30:31], v[52:55]// 000000006174: D3E10034 1CD23D9E
	ds_read_b128 v[112:115], v12 offset:13568                  // 00000000617C: D9FE3500 7000000C
	ds_write_b32 v11, v37 offset:1056                          // 000000006184: D81A0420 0000250B
	v_mfma_f32_16x16x16_bf16 v[56:59], a[144:145], a[32:33], 0 // 00000000618C: D3E10038 1A024190
	buffer_atomic_add_f32 v142, v7, s[32:35], 0 offen offset:384// 000000006194: E1341180 80088E07
	v_mfma_f32_16x16x16_bf16 v[56:59], a[146:147], a[34:35], v[56:59]// 00000000619C: D3E10038 1CE24592
	v_mfma_f32_16x16x16_bf16 v[56:59], a[148:149], a[36:37], v[56:59]// 0000000061A4: D3E10038 1CE24994
	ds_read_b128 v[116:119], v12 offset:15232                  // 0000000061AC: D9FE3B80 7400000C
	ds_write_b32 v11, v38 offset:128                           // 0000000061B4: D81A0080 0000260B
	v_mfma_f32_16x16x16_bf16 v[56:59], a[150:151], a[38:39], v[56:59]// 0000000061BC: D3E10038 1CE24D96
	v_mfma_f32_16x16x16_bf16 v[56:59], a[152:153], a[40:41], v[56:59]// 0000000061C4: D3E10038 1CE25198
	buffer_atomic_add_f32 v143, v8, s[32:35], 0 offen offset:384// 0000000061CC: E1341180 80088F08
	v_mfma_f32_16x16x16_bf16 v[56:59], a[154:155], a[42:43], v[56:59]// 0000000061D4: D3E10038 1CE2559A
	ds_read_b128 v[120:123], v12 offset:15744                  // 0000000061DC: D9FE3D80 7800000C
	ds_write_b32 v11, v39 offset:1184                          // 0000000061E4: D81A04A0 0000270B
	v_mfma_f32_16x16x16_bf16 v[56:59], a[156:157], a[44:45], v[56:59]// 0000000061EC: D3E10038 1CE2599C
	v_mfma_f32_16x16x16_bf16 v[56:59], a[158:159], a[46:47], v[56:59]// 0000000061F4: D3E10038 1CE25D9E
	s_cmp_eq_i32 s88, 0                                        // 0000000061FC: BF008058
	s_cbranch_scc1 label_0995                                  // 000000006200: BF85008F
	s_cmp_lt_i32 s74, 12                                       // 000000006204: BF048C4A
	s_cbranch_scc0 label_0940                                  // 000000006208: BF84003D
	s_lshl_b32 s60, s74, 4                                     // 00000000620C: 8E3C844A
	v_sub_i32 v28, v25, s60                                    // 000000006210: D29D001C 00007919
	s_mov_b32 s61, 0                                           // 000000006218: BEBD0080
	v_add_i32 v29, v28, s61                                    // 00000000621C: D29C001D 00007B1C
	v_cmp_gt_i32_e64 s[60:61], v29, 0                          // 000000006224: D0C4003C 0001011D
	v_cmp_gt_i32_e64 s[70:71], v29, 1                          // 00000000622C: D0C40046 0001031D
	v_cndmask_b32_e64 v48, v48, v151, s[60:61]                 // 000000006234: D1000030 00F32F30
	v_cndmask_b32_e64 v49, v49, v151, s[70:71]                 // 00000000623C: D1000031 011B2F31
	v_cmp_gt_i32_e64 s[60:61], v29, 2                          // 000000006244: D0C4003C 0001051D
	v_cmp_gt_i32_e64 s[70:71], v29, 3                          // 00000000624C: D0C40046 0001071D
	v_cndmask_b32_e64 v50, v50, v151, s[60:61]                 // 000000006254: D1000032 00F32F32
	v_cndmask_b32_e64 v51, v51, v151, s[70:71]                 // 00000000625C: D1000033 011B2F33
	s_mov_b32 s61, 64                                          // 000000006264: BEBD00C0
	v_add_i32 v29, v28, s61                                    // 000000006268: D29C001D 00007B1C
	v_cmp_gt_i32_e64 s[60:61], v29, 0                          // 000000006270: D0C4003C 0001011D
	v_cmp_gt_i32_e64 s[70:71], v29, 1                          // 000000006278: D0C40046 0001031D
	v_cndmask_b32_e64 v52, v52, v151, s[60:61]                 // 000000006280: D1000034 00F32F34
	v_cndmask_b32_e64 v53, v53, v151, s[70:71]                 // 000000006288: D1000035 011B2F35
	v_cmp_gt_i32_e64 s[60:61], v29, 2                          // 000000006290: D0C4003C 0001051D
	v_cmp_gt_i32_e64 s[70:71], v29, 3                          // 000000006298: D0C40046 0001071D
	v_cndmask_b32_e64 v54, v54, v151, s[60:61]                 // 0000000062A0: D1000036 00F32F36
	v_cndmask_b32_e64 v55, v55, v151, s[70:71]                 // 0000000062A8: D1000037 011B2F37
	s_mov_b32 s61, 0x80                                        // 0000000062B0: BEBD00FF 00000080
	v_add_i32 v29, v28, s61                                    // 0000000062B8: D29C001D 00007B1C
	v_cmp_gt_i32_e64 s[60:61], v29, 0                          // 0000000062C0: D0C4003C 0001011D
	v_cmp_gt_i32_e64 s[70:71], v29, 1                          // 0000000062C8: D0C40046 0001031D
	v_cndmask_b32_e64 v56, v56, v151, s[60:61]                 // 0000000062D0: D1000038 00F32F38
	v_cndmask_b32_e64 v57, v57, v151, s[70:71]                 // 0000000062D8: D1000039 011B2F39
	v_cmp_gt_i32_e64 s[60:61], v29, 2                          // 0000000062E0: D0C4003C 0001051D
	v_cmp_gt_i32_e64 s[70:71], v29, 3                          // 0000000062E8: D0C40046 0001071D
	v_cndmask_b32_e64 v58, v58, v151, s[60:61]                 // 0000000062F0: D100003A 00F32F3A
	v_cndmask_b32_e64 v59, v59, v151, s[70:71]                 // 0000000062F8: D100003B 011B2F3B

0000000000006300 <label_0940>:
	s_cmp_lt_i32 s84, 0xc0                                     // 000000006300: BF04FF54 000000C0
	s_cbranch_scc0 label_0995                                  // 000000006308: BF84004D
	s_cmp_le_i32 s84, 64                                       // 00000000630C: BF05C054
	s_cbranch_scc1 label_094C                                  // 000000006310: BF850007
	s_cmp_le_i32 s84, 0x80                                     // 000000006314: BF05FF54 00000080
	s_cbranch_scc1 label_0964                                  // 00000000631C: BF850017
	s_cmp_lt_i32 s84, 0xc0                                     // 000000006320: BF04FF54 000000C0
	s_cbranch_scc1 label_097C                                  // 000000006328: BF85002C
	s_branch label_0995                                        // 00000000632C: BF820044

0000000000006330 <label_094C>:
	s_mov_b32 s60, 0                                           // 000000006330: BEBC0080
	v_and_b32_e32 v28, 15, v0                                  // 000000006334: 2638008F
	v_add_u32_e64 v28, v28, s60                                // 000000006338: D134001C 0000791C
	v_mul_i32_i24_e64 v29, s46, 16                             // 000000006340: D106001D 0001202E
	v_add_u32_e32 v28, v28, v29                                // 000000006348: 68383B1C
	v_cmp_lt_u32_e64 s[60:61], v28, s84                        // 00000000634C: D0C9003C 0000A91C
	s_nop 1                                                    // 000000006354: BF800001
	v_cndmask_b32_e64 v48, v151, v48, s[60:61]                 // 000000006358: D1000030 00F26197
	v_cndmask_b32_e64 v49, v151, v49, s[60:61]                 // 000000006360: D1000031 00F26397
	v_cndmask_b32_e64 v50, v151, v50, s[60:61]                 // 000000006368: D1000032 00F26597
	v_cndmask_b32_e64 v51, v151, v51, s[60:61]                 // 000000006370: D1000033 00F26797
	s_branch label_0977                                        // 000000006378: BF820013

000000000000637c <label_0964>:
	s_mov_b32 s60, 64                                          // 00000000637C: BEBC00C0
	v_and_b32_e32 v28, 15, v0                                  // 000000006380: 2638008F
	v_add_u32_e64 v28, v28, s60                                // 000000006384: D134001C 0000791C
	v_mul_i32_i24_e64 v29, s46, 16                             // 00000000638C: D106001D 0001202E
	v_add_u32_e32 v28, v28, v29                                // 000000006394: 68383B1C
	v_cmp_lt_u32_e64 s[60:61], v28, s84                        // 000000006398: D0C9003C 0000A91C
	s_nop 1                                                    // 0000000063A0: BF800001
	v_cndmask_b32_e64 v52, v151, v52, s[60:61]                 // 0000000063A4: D1000034 00F26997
	v_cndmask_b32_e64 v53, v151, v53, s[60:61]                 // 0000000063AC: D1000035 00F26B97
	v_cndmask_b32_e64 v54, v151, v54, s[60:61]                 // 0000000063B4: D1000036 00F26D97
	v_cndmask_b32_e64 v55, v151, v55, s[60:61]                 // 0000000063BC: D1000037 00F26F97
	s_branch label_0990                                        // 0000000063C4: BF820019

00000000000063c8 <label_0977>:
	v_mov_b32_e32 v52, v151                                    // 0000000063C8: 7E680397
	v_mov_b32_e32 v53, v151                                    // 0000000063CC: 7E6A0397
	v_mov_b32_e32 v54, v151                                    // 0000000063D0: 7E6C0397
	v_mov_b32_e32 v55, v151                                    // 0000000063D4: 7E6E0397
	s_branch label_0990                                        // 0000000063D8: BF820014

00000000000063dc <label_097C>:
	s_mov_b32 s60, 0x80                                        // 0000000063DC: BEBC00FF 00000080
	v_and_b32_e32 v28, 15, v0                                  // 0000000063E4: 2638008F
	v_add_u32_e64 v28, v28, s60                                // 0000000063E8: D134001C 0000791C
	v_mul_i32_i24_e64 v29, s46, 16                             // 0000000063F0: D106001D 0001202E
	v_add_u32_e32 v28, v28, v29                                // 0000000063F8: 68383B1C
	v_cmp_lt_u32_e64 s[60:61], v28, s84                        // 0000000063FC: D0C9003C 0000A91C
	s_nop 1                                                    // 000000006404: BF800001
	v_cndmask_b32_e64 v56, v151, v56, s[60:61]                 // 000000006408: D1000038 00F27197
	v_cndmask_b32_e64 v57, v151, v57, s[60:61]                 // 000000006410: D1000039 00F27397
	v_cndmask_b32_e64 v58, v151, v58, s[60:61]                 // 000000006418: D100003A 00F27597
	v_cndmask_b32_e64 v59, v151, v59, s[60:61]                 // 000000006420: D100003B 00F27797
	s_branch label_0995                                        // 000000006428: BF820005

000000000000642c <label_0990>:
	v_mov_b32_e32 v56, v151                                    // 00000000642C: 7E700397
	v_mov_b32_e32 v57, v151                                    // 000000006430: 7E720397
	v_mov_b32_e32 v58, v151                                    // 000000006434: 7E740397
	v_mov_b32_e32 v59, v151                                    // 000000006438: 7E760397
	s_branch label_0995                                        // 00000000643C: BF820000

0000000000006440 <label_0995>:
	s_addk_i32 s74, 0x1                                        // 000000006440: B74A0001
	s_waitcnt lgkmcnt(8)                                       // 000000006444: BF8CC87F
	s_barrier                                                  // 000000006448: BF8A0000
	v_mfma_f32_16x16x16_bf16 v[72:75], v[92:93], a[96:97], 0   // 00000000644C: D3E10048 1202C15C
	ds_read_b128 a[144:147], v12 offset:4352                   // 000000006454: DBFE1100 9000000C
	ds_read_b128 a[148:151], v12 offset:4864                   // 00000000645C: DBFE1300 9400000C
	v_mfma_f32_16x16x16_bf16 v[72:75], v[94:95], a[98:99], v[72:75]// 000000006464: D3E10048 1522C55E
	v_fma_f32 v48, v48, s57, -v124                             // 00000000646C: D1CB0030 85F07330
	v_fma_f32 v49, v49, s57, -v125                             // 000000006474: D1CB0031 85F47331
	v_fma_f32 v50, v50, s57, -v126                             // 00000000647C: D1CB0032 85F87332
	v_mfma_f32_16x16x16_bf16 v[72:75], v[96:97], a[100:101], v[72:75]// 000000006484: D3E10048 1522C960
	v_fma_f32 v51, v51, s57, -v127                             // 00000000648C: D1CB0033 85FC7333
	v_fma_f32 v52, v52, s57, -v124                             // 000000006494: D1CB0034 85F07334
	v_fma_f32 v53, v53, s57, -v125                             // 00000000649C: D1CB0035 85F47335
	v_mfma_f32_16x16x16_bf16 v[72:75], v[98:99], a[102:103], v[72:75]// 0000000064A4: D3E10048 1522CD62
	v_fma_f32 v54, v54, s57, -v126                             // 0000000064AC: D1CB0036 85F87336
	v_fma_f32 v55, v55, s57, -v127                             // 0000000064B4: D1CB0037 85FC7337
	v_fma_f32 v56, v56, s57, -v124                             // 0000000064BC: D1CB0038 85F07338
	v_mfma_f32_16x16x16_bf16 v[72:75], v[100:101], a[104:105], v[72:75]// 0000000064C4: D3E10048 1522D164
	ds_read_b128 a[152:155], v12 offset:6528                   // 0000000064CC: DBFE1980 9800000C
	ds_read_b128 a[156:159], v12 offset:7040                   // 0000000064D4: DBFE1B80 9C00000C
	v_mfma_f32_16x16x16_bf16 v[72:75], v[102:103], a[106:107], v[72:75]// 0000000064DC: D3E10048 1522D566
	v_fma_f32 v57, v57, s57, -v125                             // 0000000064E4: D1CB0039 85F47339
	v_fma_f32 v58, v58, s57, -v126                             // 0000000064EC: D1CB003A 85F8733A
	v_fma_f32 v59, v59, s57, -v127                             // 0000000064F4: D1CB003B 85FC733B
	v_mfma_f32_16x16x16_bf16 v[72:75], v[104:105], a[108:109], v[72:75]// 0000000064FC: D3E10048 1522D968
	v_exp_f32_e32 v48, v48                                     // 000000006504: 7E604130
	v_mfma_f32_16x16x16_bf16 v[72:75], v[106:107], a[110:111], v[72:75]// 000000006508: D3E10048 1522DD6A
	v_exp_f32_e32 v49, v49                                     // 000000006510: 7E624131
	v_mfma_f32_16x16x16_bf16 v[76:79], v[92:93], a[112:113], 0 // 000000006514: D3E1004C 1202E15C
	ds_read_b64 v[136:137], v19 offset:24320                   // 00000000651C: D8EC5F00 88000013
	ds_read_b64 v[138:139], v19 offset:26368                   // 000000006524: D8EC6700 8A000013
	v_mfma_f32_16x16x16_bf16 v[76:79], v[94:95], a[114:115], v[76:79]// 00000000652C: D3E1004C 1532E55E
	v_exp_f32_e32 v50, v50                                     // 000000006534: 7E644132
	v_mfma_f32_16x16x16_bf16 v[76:79], v[96:97], a[116:117], v[76:79]// 000000006538: D3E1004C 1532E960
	ds_read_b64 v[140:141], v19 offset:28416                   // 000000006540: D8EC6F00 8C000013
	ds_read_b64 v[142:143], v19 offset:30464                   // 000000006548: D8EC7700 8E000013
	v_mfma_f32_16x16x16_bf16 v[76:79], v[98:99], a[118:119], v[76:79]// 000000006550: D3E1004C 1532ED62
	v_exp_f32_e32 v51, v51                                     // 000000006558: 7E664133
	v_mfma_f32_16x16x16_bf16 v[76:79], v[100:101], a[120:121], v[76:79]// 00000000655C: D3E1004C 1532F164
	v_exp_f32_e32 v52, v52                                     // 000000006564: 7E684134
	v_mfma_f32_16x16x16_bf16 v[76:79], v[102:103], a[122:123], v[76:79]// 000000006568: D3E1004C 1532F566
	v_exp_f32_e32 v53, v53                                     // 000000006570: 7E6A4135
	v_mfma_f32_16x16x16_bf16 v[76:79], v[104:105], a[124:125], v[76:79]// 000000006574: D3E1004C 1532F968
	v_exp_f32_e32 v54, v54                                     // 00000000657C: 7E6C4136
	v_mfma_f32_16x16x16_bf16 v[76:79], v[106:107], a[126:127], v[76:79]// 000000006580: D3E1004C 1532FD6A
	v_exp_f32_e32 v55, v55                                     // 000000006588: 7E6E4137
	v_mfma_f32_16x16x16_bf16 v[80:83], v[92:93], a[128:129], 0 // 00000000658C: D3E10050 1203015C
	v_exp_f32_e32 v56, v56                                     // 000000006594: 7E704138
	v_mfma_f32_16x16x16_bf16 v[80:83], v[94:95], a[130:131], v[80:83]// 000000006598: D3E10050 1543055E
	v_exp_f32_e32 v57, v57                                     // 0000000065A0: 7E724139
	v_mfma_f32_16x16x16_bf16 v[80:83], v[96:97], a[132:133], v[80:83]// 0000000065A4: D3E10050 15430960
	v_exp_f32_e32 v58, v58                                     // 0000000065AC: 7E74413A
	v_mfma_f32_16x16x16_bf16 v[80:83], v[98:99], a[134:135], v[80:83]// 0000000065B0: D3E10050 15430D62
	v_exp_f32_e32 v59, v59                                     // 0000000065B8: 7E76413B
	v_mfma_f32_16x16x16_bf16 v[80:83], v[100:101], a[136:137], v[80:83]// 0000000065BC: D3E10050 15431164
	v_cmp_u_f32_e64 s[78:79], v48, v48                         // 0000000065C4: D048004E 00026130
	v_add3_u32 v248, v48, v251, 1                              // 0000000065CC: D1FF00F8 0207F730
	v_cndmask_b32_e64 v28, v248, v250, s[78:79]                // 0000000065D4: D100001C 013BF5F8
	v_cmp_u_f32_e64 s[78:79], v49, v49                         // 0000000065DC: D048004E 00026331
	v_add3_u32 v248, v49, v251, 1                              // 0000000065E4: D1FF00F8 0207F731
	v_cndmask_b32_e64 v29, v248, v250, s[78:79]                // 0000000065EC: D100001D 013BF5F8
	v_perm_b32 v144, v29, v28, s64                             // 0000000065F4: D1ED0090 0102391D
	v_cmp_u_f32_e64 s[78:79], v50, v50                         // 0000000065FC: D048004E 00026532
	v_add3_u32 v248, v50, v251, 1                              // 000000006604: D1FF00F8 0207F732
	v_cndmask_b32_e64 v28, v248, v250, s[78:79]                // 00000000660C: D100001C 013BF5F8
	v_cmp_u_f32_e64 s[78:79], v51, v51                         // 000000006614: D048004E 00026733
	v_add3_u32 v248, v51, v251, 1                              // 00000000661C: D1FF00F8 0207F733
	v_cndmask_b32_e64 v29, v248, v250, s[78:79]                // 000000006624: D100001D 013BF5F8
	v_perm_b32 v145, v29, v28, s64                             // 00000000662C: D1ED0091 0102391D
	v_cmp_u_f32_e64 s[78:79], v52, v52                         // 000000006634: D048004E 00026934
	v_add3_u32 v248, v52, v251, 1                              // 00000000663C: D1FF00F8 0207F734
	v_cndmask_b32_e64 v28, v248, v250, s[78:79]                // 000000006644: D100001C 013BF5F8
	v_cmp_u_f32_e64 s[78:79], v53, v53                         // 00000000664C: D048004E 00026B35
	v_add3_u32 v248, v53, v251, 1                              // 000000006654: D1FF00F8 0207F735
	v_cndmask_b32_e64 v29, v248, v250, s[78:79]                // 00000000665C: D100001D 013BF5F8
	v_perm_b32 v146, v29, v28, s64                             // 000000006664: D1ED0092 0102391D
	v_mfma_f32_16x16x16_bf16 v[80:83], v[102:103], a[138:139], v[80:83]// 00000000666C: D3E10050 15431566
	v_cmp_u_f32_e64 s[78:79], v54, v54                         // 000000006674: D048004E 00026D36
	v_add3_u32 v248, v54, v251, 1                              // 00000000667C: D1FF00F8 0207F736
	v_cndmask_b32_e64 v28, v248, v250, s[78:79]                // 000000006684: D100001C 013BF5F8
	v_cmp_u_f32_e64 s[78:79], v55, v55                         // 00000000668C: D048004E 00026F37
	v_add3_u32 v248, v55, v251, 1                              // 000000006694: D1FF00F8 0207F737
	v_cndmask_b32_e64 v29, v248, v250, s[78:79]                // 00000000669C: D100001D 013BF5F8
	v_perm_b32 v147, v29, v28, s64                             // 0000000066A4: D1ED0093 0102391D
	v_cmp_u_f32_e64 s[78:79], v56, v56                         // 0000000066AC: D048004E 00027138
	v_add3_u32 v248, v56, v251, 1                              // 0000000066B4: D1FF00F8 0207F738
	v_cndmask_b32_e64 v28, v248, v250, s[78:79]                // 0000000066BC: D100001C 013BF5F8
	v_cmp_u_f32_e64 s[78:79], v57, v57                         // 0000000066C4: D048004E 00027339
	v_add3_u32 v248, v57, v251, 1                              // 0000000066CC: D1FF00F8 0207F739
	v_cndmask_b32_e64 v29, v248, v250, s[78:79]                // 0000000066D4: D100001D 013BF5F8
	v_perm_b32 v148, v29, v28, s64                             // 0000000066DC: D1ED0094 0102391D
	v_cmp_u_f32_e64 s[78:79], v58, v58                         // 0000000066E4: D048004E 0002753A
	v_add3_u32 v248, v58, v251, 1                              // 0000000066EC: D1FF00F8 0207F73A
	v_cndmask_b32_e64 v28, v248, v250, s[78:79]                // 0000000066F4: D100001C 013BF5F8
	v_cmp_u_f32_e64 s[78:79], v59, v59                         // 0000000066FC: D048004E 0002773B
	v_add3_u32 v248, v59, v251, 1                              // 000000006704: D1FF00F8 0207F73B
	v_cndmask_b32_e64 v29, v248, v250, s[78:79]                // 00000000670C: D100001D 013BF5F8
	v_perm_b32 v149, v29, v28, s64                             // 000000006714: D1ED0095 0102391D
	v_mfma_f32_16x16x16_bf16 v[80:83], v[104:105], a[140:141], v[80:83]// 00000000671C: D3E10050 15431968
	v_add_u32_e32 v7, s66, v7                                  // 000000006724: 680E0E42
	v_add_u32_e32 v8, s66, v8                                  // 000000006728: 68101042
	v_mfma_f32_16x16x16_bf16 v[80:83], v[106:107], a[142:143], v[80:83]// 00000000672C: D3E10050 15431D6A
	s_waitcnt lgkmcnt(0)                                       // 000000006734: BF8CC07F
	s_barrier                                                  // 000000006738: BF8A0000
	v_mfma_f32_16x16x16_bf16 v[152:155], v[108:109], v[144:145], v[152:155]// 00000000673C: D3E10098 0663216C
	v_subrev_f32_dpp v72, v150, v72 quad_perm:[0,0,0,0] row_mask:0xf bank_mask:0xf// 000000006744: 069090FA FF000096
	v_subrev_f32_dpp v73, v150, v73 quad_perm:[1,1,1,1] row_mask:0xf bank_mask:0xf// 00000000674C: 069292FA FF005596
	v_subrev_f32_dpp v74, v150, v74 quad_perm:[2,2,2,2] row_mask:0xf bank_mask:0xf// 000000006754: 069494FA FF00AA96
	v_mfma_f32_16x16x16_bf16 v[156:159], v[110:111], v[144:145], v[156:159]// 00000000675C: D3E1009C 0673216E
	v_subrev_f32_dpp v75, v150, v75 quad_perm:[3,3,3,3] row_mask:0xf bank_mask:0xf// 000000006764: 069696FA FF00FF96
	v_subrev_f32_dpp v76, v150, v76 quad_perm:[0,0,0,0] row_mask:0xf bank_mask:0xf// 00000000676C: 069898FA FF000096
	v_subrev_f32_dpp v77, v150, v77 quad_perm:[1,1,1,1] row_mask:0xf bank_mask:0xf// 000000006774: 069A9AFA FF005596
	v_mfma_f32_16x16x16_bf16 v[160:163], v[112:113], v[144:145], v[160:163]// 00000000677C: D3E100A0 06832170
	v_mul_f32_e32 v72, v48, v72                                // 000000006784: 0A909130
	v_mul_f32_e32 v73, v49, v73                                // 000000006788: 0A929331
	v_mul_f32_e32 v74, v50, v74                                // 00000000678C: 0A949532
	v_mfma_f32_16x16x16_bf16 v[164:167], v[114:115], v[144:145], v[164:167]// 000000006790: D3E100A4 06932172
	v_mul_f32_e32 v75, v51, v75                                // 000000006798: 0A969733
	v_mul_f32_e32 v76, v52, v76                                // 00000000679C: 0A989934
	v_mul_f32_e32 v77, v53, v77                                // 0000000067A0: 0A9A9B35
	v_mfma_f32_16x16x16_bf16 v[168:171], v[116:117], v[144:145], v[168:171]// 0000000067A4: D3E100A8 06A32174
	v_cmp_u_f32_e64 s[78:79], v72, v72                         // 0000000067AC: D048004E 00029148
	v_add3_u32 v248, v72, v251, 1                              // 0000000067B4: D1FF00F8 0207F748
	v_cndmask_b32_e64 v28, v248, v250, s[78:79]                // 0000000067BC: D100001C 013BF5F8
	v_cmp_u_f32_e64 s[78:79], v73, v73                         // 0000000067C4: D048004E 00029349
	v_add3_u32 v248, v73, v251, 1                              // 0000000067CC: D1FF00F8 0207F749
	v_cndmask_b32_e64 v29, v248, v250, s[78:79]                // 0000000067D4: D100001D 013BF5F8
	v_perm_b32 v72, v29, v28, s64                              // 0000000067DC: D1ED0048 0102391D
	v_cmp_u_f32_e64 s[78:79], v74, v74                         // 0000000067E4: D048004E 0002954A
	v_add3_u32 v248, v74, v251, 1                              // 0000000067EC: D1FF00F8 0207F74A
	v_cndmask_b32_e64 v28, v248, v250, s[78:79]                // 0000000067F4: D100001C 013BF5F8
	v_cmp_u_f32_e64 s[78:79], v75, v75                         // 0000000067FC: D048004E 0002974B
	v_add3_u32 v248, v75, v251, 1                              // 000000006804: D1FF00F8 0207F74B
	v_cndmask_b32_e64 v29, v248, v250, s[78:79]                // 00000000680C: D100001D 013BF5F8
	v_perm_b32 v73, v29, v28, s64                              // 000000006814: D1ED0049 0102391D
	v_cmp_u_f32_e64 s[78:79], v76, v76                         // 00000000681C: D048004E 0002994C
	v_add3_u32 v248, v76, v251, 1                              // 000000006824: D1FF00F8 0207F74C
	v_cndmask_b32_e64 v28, v248, v250, s[78:79]                // 00000000682C: D100001C 013BF5F8
	v_cmp_u_f32_e64 s[78:79], v77, v77                         // 000000006834: D048004E 00029B4D
	v_add3_u32 v248, v77, v251, 1                              // 00000000683C: D1FF00F8 0207F74D
	v_cndmask_b32_e64 v29, v248, v250, s[78:79]                // 000000006844: D100001D 013BF5F8
	v_perm_b32 v74, v29, v28, s64                              // 00000000684C: D1ED004A 0102391D
	v_mfma_f32_16x16x16_bf16 v[172:175], v[118:119], v[144:145], v[172:175]// 000000006854: D3E100AC 06B32176
	v_mov_b32_dpp v16, v72 quad_perm:[1,0,3,2] row_mask:0xf bank_mask:0xf// 00000000685C: 7E2002FA FF00B148
	v_perm_b32 v48, v16, v72, v15                              // 000000006864: D1ED0030 043E9110
	v_mov_b32_dpp v16, v73 quad_perm:[1,0,3,2] row_mask:0xf bank_mask:0xf// 00000000686C: 7E2002FA FF00B149
	v_mfma_f32_16x16x16_bf16 v[176:179], v[120:121], v[144:145], v[176:179]// 000000006874: D3E100B0 06C32178
	v_perm_b32 v49, v16, v73, v15                              // 00000000687C: D1ED0031 043E9310
	v_mov_b32_dpp v16, v74 quad_perm:[1,0,3,2] row_mask:0xf bank_mask:0xf// 000000006884: 7E2002FA FF00B14A
	v_perm_b32 v50, v16, v74, v15                              // 00000000688C: D1ED0032 043E9510
	v_mfma_f32_16x16x16_bf16 v[180:183], v[122:123], v[144:145], v[180:183]// 000000006894: D3E100B4 06D3217A
	ds_write_b32 v18, v48 offset:17408                         // 00000000689C: D81A4400 00003012
	v_mfma_f32_16x16x16_bf16 v[184:187], v[108:109], v[146:147], v[184:187]// 0000000068A4: D3E100B8 06E3256C
	v_subrev_f32_dpp v78, v150, v78 quad_perm:[2,2,2,2] row_mask:0xf bank_mask:0xf// 0000000068AC: 069C9CFA FF00AA96
	v_subrev_f32_dpp v79, v150, v79 quad_perm:[3,3,3,3] row_mask:0xf bank_mask:0xf// 0000000068B4: 069E9EFA FF00FF96
	v_subrev_f32_dpp v80, v150, v80 quad_perm:[0,0,0,0] row_mask:0xf bank_mask:0xf// 0000000068BC: 06A0A0FA FF000096
	v_mfma_f32_16x16x16_bf16 v[188:191], v[110:111], v[146:147], v[188:191]// 0000000068C4: D3E100BC 06F3256E
	ds_write_b32 v18, v49 offset:17952                         // 0000000068CC: D81A4620 00003112
	v_mfma_f32_16x16x16_bf16 v[192:195], v[112:113], v[146:147], v[192:195]// 0000000068D4: D3E100C0 07032570
	v_subrev_f32_dpp v81, v150, v81 quad_perm:[1,1,1,1] row_mask:0xf bank_mask:0xf// 0000000068DC: 06A2A2FA FF005596
	v_subrev_f32_dpp v82, v150, v82 quad_perm:[2,2,2,2] row_mask:0xf bank_mask:0xf// 0000000068E4: 06A4A4FA FF00AA96
	v_subrev_f32_dpp v83, v150, v83 quad_perm:[3,3,3,3] row_mask:0xf bank_mask:0xf// 0000000068EC: 06A6A6FA FF00FF96
	v_mfma_f32_16x16x16_bf16 v[196:199], v[114:115], v[146:147], v[196:199]// 0000000068F4: D3E100C4 07132572
	ds_write_b32 v18, v50 offset:19712                         // 0000000068FC: D81A4D00 00003212
	v_mfma_f32_16x16x16_bf16 v[200:203], v[116:117], v[146:147], v[200:203]// 000000006904: D3E100C8 07232574
	v_mul_f32_e32 v78, v54, v78                                // 00000000690C: 0A9C9D36
	v_mul_f32_e32 v79, v55, v79                                // 000000006910: 0A9E9F37
	v_mul_f32_e32 v80, v56, v80                                // 000000006914: 0AA0A138
	v_mfma_f32_16x16x16_bf16 v[204:207], v[118:119], v[146:147], v[204:207]// 000000006918: D3E100CC 07332576
	v_mul_f32_e32 v81, v57, v81                                // 000000006920: 0AA2A339
	v_mul_f32_e32 v82, v58, v82                                // 000000006924: 0AA4A53A
	v_mul_f32_e32 v83, v59, v83                                // 000000006928: 0AA6A73B
	v_mfma_f32_16x16x16_bf16 v[208:211], v[120:121], v[146:147], v[208:211]// 00000000692C: D3E100D0 07432578
	v_cmp_u_f32_e64 s[78:79], v78, v78                         // 000000006934: D048004E 00029D4E
	v_add3_u32 v248, v78, v251, 1                              // 00000000693C: D1FF00F8 0207F74E
	v_cndmask_b32_e64 v28, v248, v250, s[78:79]                // 000000006944: D100001C 013BF5F8
	v_cmp_u_f32_e64 s[78:79], v79, v79                         // 00000000694C: D048004E 00029F4F
	v_add3_u32 v248, v79, v251, 1                              // 000000006954: D1FF00F8 0207F74F
	v_cndmask_b32_e64 v29, v248, v250, s[78:79]                // 00000000695C: D100001D 013BF5F8
	v_perm_b32 v75, v29, v28, s64                              // 000000006964: D1ED004B 0102391D
	v_cmp_u_f32_e64 s[78:79], v80, v80                         // 00000000696C: D048004E 0002A150
	v_add3_u32 v248, v80, v251, 1                              // 000000006974: D1FF00F8 0207F750
	v_cndmask_b32_e64 v28, v248, v250, s[78:79]                // 00000000697C: D100001C 013BF5F8
	v_cmp_u_f32_e64 s[78:79], v81, v81                         // 000000006984: D048004E 0002A351
	v_add3_u32 v248, v81, v251, 1                              // 00000000698C: D1FF00F8 0207F751
	v_cndmask_b32_e64 v29, v248, v250, s[78:79]                // 000000006994: D100001D 013BF5F8
	v_perm_b32 v76, v29, v28, s64                              // 00000000699C: D1ED004C 0102391D
	v_cmp_u_f32_e64 s[78:79], v82, v82                         // 0000000069A4: D048004E 0002A552
	v_add3_u32 v248, v82, v251, 1                              // 0000000069AC: D1FF00F8 0207F752
	v_cndmask_b32_e64 v28, v248, v250, s[78:79]                // 0000000069B4: D100001C 013BF5F8
	v_cmp_u_f32_e64 s[78:79], v83, v83                         // 0000000069BC: D048004E 0002A753
	v_add3_u32 v248, v83, v251, 1                              // 0000000069C4: D1FF00F8 0207F753
	v_cndmask_b32_e64 v29, v248, v250, s[78:79]                // 0000000069CC: D100001D 013BF5F8
	v_perm_b32 v77, v29, v28, s64                              // 0000000069D4: D1ED004D 0102391D
	v_mfma_f32_16x16x16_bf16 v[212:215], v[122:123], v[146:147], v[212:215]// 0000000069DC: D3E100D4 0753257A
	v_mov_b32_dpp v16, v75 quad_perm:[1,0,3,2] row_mask:0xf bank_mask:0xf// 0000000069E4: 7E2002FA FF00B14B
	v_perm_b32 v51, v16, v75, v15                              // 0000000069EC: D1ED0033 043E9710
	v_mov_b32_dpp v16, v76 quad_perm:[1,0,3,2] row_mask:0xf bank_mask:0xf// 0000000069F4: 7E2002FA FF00B14C
	v_mfma_f32_16x16x16_bf16 v[216:219], v[108:109], v[148:149], v[216:219]// 0000000069FC: D3E100D8 0763296C
	v_perm_b32 v52, v16, v76, v15                              // 000000006A04: D1ED0034 043E9910
	v_mov_b32_dpp v16, v77 quad_perm:[1,0,3,2] row_mask:0xf bank_mask:0xf// 000000006A0C: 7E2002FA FF00B14D
	v_perm_b32 v53, v16, v77, v15                              // 000000006A14: D1ED0035 043E9B10
	v_mfma_f32_16x16x16_bf16 v[220:223], v[110:111], v[148:149], v[220:223]// 000000006A1C: D3E100DC 0773296E
	ds_write_b32 v18, v51 offset:20256                         // 000000006A24: D81A4F20 00003312
	v_mfma_f32_16x16x16_bf16 v[224:227], v[112:113], v[148:149], v[224:227]// 000000006A2C: D3E100E0 07832970
	v_mfma_f32_16x16x16_bf16 v[228:231], v[114:115], v[148:149], v[228:231]// 000000006A34: D3E100E4 07932972
	ds_write_b32 v18, v52 offset:22016                         // 000000006A3C: D81A5600 00003412
	ds_write_b32 v18, v53 offset:22560                         // 000000006A44: D81A5820 00003512
	v_mfma_f32_16x16x16_bf16 v[232:235], v[116:117], v[148:149], v[232:235]// 000000006A4C: D3E100E8 07A32974
	v_mfma_f32_16x16x16_bf16 v[236:239], v[118:119], v[148:149], v[236:239]// 000000006A54: D3E100EC 07B32976
	ds_write_b32 v13, v84 offset:4352                          // 000000006A5C: D81A1100 0000540D
	ds_write_b32 v13, v85 offset:5408                          // 000000006A64: D81A1520 0000550D
	v_mfma_f32_16x16x16_bf16 v[240:243], v[120:121], v[148:149], v[240:243]// 000000006A6C: D3E100F0 07C32978
	s_nop 0                                                    // 000000006A74: BF800000
	s_nop 0                                                    // 000000006A78: BF800000
	s_nop 0                                                    // 000000006A7C: BF800000
	v_mfma_f32_16x16x16_bf16 v[244:247], v[122:123], v[148:149], v[244:247]// 000000006A80: D3E100F4 07D3297A
	ds_write_b32 v13, v86 offset:4480                          // 000000006A88: D81A1180 0000560D
	ds_write_b32 v13, v87 offset:5536                          // 000000006A90: D81A15A0 0000570D
	s_barrier                                                  // 000000006A98: BF8A0000
	v_mfma_f32_16x16x16_bf16 a[160:163], a[144:145], v[72:73], a[160:163]// 000000006A9C: D3E180A0 0E829190
	buffer_atomic_add_f32 v136, v7, s[32:35], 0 offen          // 000000006AA4: E1341000 80088807
	v_mfma_f32_16x16x16_bf16 a[164:167], a[146:147], v[72:73], a[164:167]// 000000006AAC: D3E180A4 0E929192
	ds_read_b32 v124, v21 offset:51200                         // 000000006AB4: D86CC800 7C000015
	ds_read_b32 v150, v21 offset:51456                         // 000000006ABC: D86CC900 96000015
	v_mfma_f32_16x16x16_bf16 a[168:171], a[148:149], v[72:73], a[168:171]// 000000006AC4: D3E180A8 0EA29194
	s_waitcnt lgkmcnt(6)                                       // 000000006ACC: BF8CC67F
	s_barrier                                                  // 000000006AD0: BF8A0000
	v_mfma_f32_16x16x16_bf16 a[172:175], a[150:151], v[72:73], a[172:175]// 000000006AD4: D3E180AC 0EB29196
	ds_read_b128 v[48:51], v17 offset:17408                    // 000000006ADC: D9FE4400 30000011
	v_mfma_f32_16x16x16_bf16 a[176:179], a[152:153], v[72:73], a[176:179]// 000000006AE4: D3E180B0 0EC29198
	v_mfma_f32_16x16x16_bf16 a[180:183], a[154:155], v[72:73], a[180:183]// 000000006AEC: D3E180B4 0ED2919A
	ds_read_b128 v[52:55], v17 offset:18560                    // 000000006AF4: D9FE4880 34000011
	v_mfma_f32_16x16x16_bf16 a[184:187], a[156:157], v[72:73], a[184:187]// 000000006AFC: D3E180B8 0EE2919C
	buffer_atomic_add_f32 v137, v8, s[32:35], 0 offen          // 000000006B04: E1341000 80088908
	v_mfma_f32_16x16x16_bf16 a[188:191], a[158:159], v[72:73], a[188:191]// 000000006B0C: D3E180BC 0EF2919E
	ds_read_b128 v[56:59], v17 offset:19712                    // 000000006B14: D9FE4D00 38000011
	v_mfma_f32_16x16x16_bf16 a[192:195], a[144:145], v[74:75], a[192:195]// 000000006B1C: D3E180C0 0F029590
	v_mfma_f32_16x16x16_bf16 a[196:199], a[146:147], v[74:75], a[196:199]// 000000006B24: D3E180C4 0F129592
	ds_read_b128 v[60:63], v17 offset:20864                    // 000000006B2C: D9FE5180 3C000011
	v_mfma_f32_16x16x16_bf16 a[200:203], a[148:149], v[74:75], a[200:203]// 000000006B34: D3E180C8 0F229594
	v_mfma_f32_16x16x16_bf16 a[204:207], a[150:151], v[74:75], a[204:207]// 000000006B3C: D3E180CC 0F329596
	ds_read_b128 v[64:67], v17 offset:22016                    // 000000006B44: D9FE5600 40000011
	v_mfma_f32_16x16x16_bf16 a[208:211], a[152:153], v[74:75], a[208:211]// 000000006B4C: D3E180D0 0F429598
	buffer_atomic_add_f32 v138, v7, s[32:35], 0 offen offset:128// 000000006B54: E1341080 80088A07
	v_mfma_f32_16x16x16_bf16 a[212:215], a[154:155], v[74:75], a[212:215]// 000000006B5C: D3E180D4 0F52959A
	ds_read_b128 v[68:71], v17 offset:23168                    // 000000006B64: D9FE5A80 44000011
	v_mfma_f32_16x16x16_bf16 a[216:219], a[156:157], v[74:75], a[216:219]// 000000006B6C: D3E180D8 0F62959C
	v_mfma_f32_16x16x16_bf16 a[220:223], a[158:159], v[74:75], a[220:223]// 000000006B74: D3E180DC 0F72959E
	ds_write_b32 v13, v88 offset:13056                         // 000000006B7C: D81A3300 0000580D
	v_mfma_f32_16x16x16_bf16 a[224:227], a[144:145], v[76:77], a[224:227]// 000000006B84: D3E180E0 0F829990
	v_mfma_f32_16x16x16_bf16 a[228:231], a[146:147], v[76:77], a[228:231]// 000000006B8C: D3E180E4 0F929992
	ds_write_b32 v13, v89 offset:14112                         // 000000006B94: D81A3720 0000590D
	v_mfma_f32_16x16x16_bf16 a[232:235], a[148:149], v[76:77], a[232:235]// 000000006B9C: D3E180E8 0FA29994
	buffer_atomic_add_f32 v139, v8, s[32:35], 0 offen offset:128// 000000006BA4: E1341080 80088B08
	v_mfma_f32_16x16x16_bf16 a[236:239], a[150:151], v[76:77], a[236:239]// 000000006BAC: D3E180EC 0FB29996
	ds_write_b32 v13, v90 offset:13184                         // 000000006BB4: D81A3380 00005A0D
	v_mfma_f32_16x16x16_bf16 a[240:243], a[152:153], v[76:77], a[240:243]// 000000006BBC: D3E180F0 0FC29998
	v_mfma_f32_16x16x16_bf16 a[244:247], a[154:155], v[76:77], a[244:247]// 000000006BC4: D3E180F4 0FD2999A
	ds_write_b32 v13, v91 offset:14240                         // 000000006BCC: D81A37A0 00005B0D
	v_mfma_f32_16x16x16_bf16 a[248:251], a[156:157], v[76:77], a[248:251]// 000000006BD4: D3E180F8 0FE2999C
	v_mfma_f32_16x16x16_bf16 a[252:255], a[158:159], v[76:77], a[252:255]// 000000006BDC: D3E180FC 0FF2999E
	s_waitcnt vmcnt(8) lgkmcnt(4)                              // 000000006BE4: BF8C0478
	s_barrier                                                  // 000000006BE8: BF8A0000
	v_mfma_f32_16x16x16_bf16 v[128:131], v[48:49], a[48:49], 0 // 000000006BEC: D3E10080 12026130
	v_mul_f32_e32 v124, s48, v124                              // 000000006BF4: 0AF8F830
	s_nop 0                                                    // 000000006BF8: BF800000
	v_mfma_f32_16x16x16_bf16 v[128:131], v[50:51], a[52:53], v[128:131]// 000000006BFC: D3E10080 16026932
	ds_read_b128 a[144:147], v10                               // 000000006C04: DBFE0000 9000000A
	buffer_load_dword v36, v1, s[8:11], 0 idxen                // 000000006C0C: E0502000 80022401
	v_mfma_f32_16x16x16_bf16 v[128:131], v[52:53], a[56:57], v[128:131]// 000000006C14: D3E10080 16027134
	v_mfma_f32_16x16x16_bf16 v[128:131], v[54:55], a[60:61], v[128:131]// 000000006C1C: D3E10080 16027936
	ds_read_b128 a[148:151], v10 offset:512                    // 000000006C24: DBFE0200 9400000A
	buffer_load_dword v37, v2, s[8:11], 0 idxen                // 000000006C2C: E0502000 80022502
	v_mfma_f32_16x16x16_bf16 v[128:131], v[56:57], a[64:65], v[128:131]// 000000006C34: D3E10080 16028138
	v_perm_b32 v84, v33, v32, s63                              // 000000006C3C: D1ED0054 00FE4121
	v_perm_b32 v85, v33, v32, s64                              // 000000006C44: D1ED0055 01024121
	v_mfma_f32_16x16x16_bf16 v[128:131], v[58:59], a[68:69], v[128:131]// 000000006C4C: D3E10080 1602893A
	ds_read_b128 a[152:155], v10 offset:2176                   // 000000006C54: DBFE0880 9800000A
	buffer_load_dword v38, v3, s[8:11], 0 idxen                // 000000006C5C: E0502000 80022603
	v_mfma_f32_16x16x16_bf16 v[128:131], v[60:61], a[72:73], v[128:131]// 000000006C64: D3E10080 1602913C
	v_perm_b32 v86, v35, v34, s63                              // 000000006C6C: D1ED0056 00FE4523
	v_perm_b32 v87, v35, v34, s64                              // 000000006C74: D1ED0057 01024523
	v_mfma_f32_16x16x16_bf16 v[128:131], v[62:63], a[76:77], v[128:131]// 000000006C7C: D3E10080 1602993E
	ds_read_b128 a[156:159], v10 offset:2688                   // 000000006C84: DBFE0A80 9C00000A
	buffer_load_dword v39, v4, s[8:11], 0 idxen                // 000000006C8C: E0502000 80022704
	v_mfma_f32_16x16x16_bf16 v[128:131], v[64:65], a[80:81], v[128:131]// 000000006C94: D3E10080 1602A140
	v_perm_b32 v88, v41, v40, s63                              // 000000006C9C: D1ED0058 00FE5129
	v_perm_b32 v89, v41, v40, s64                              // 000000006CA4: D1ED0059 01025129
	v_mfma_f32_16x16x16_bf16 v[128:131], v[66:67], a[84:85], v[128:131]// 000000006CAC: D3E10080 1602A942
	ds_read_b128 v[92:95], v10 offset:8704                     // 000000006CB4: D9FE2200 5C00000A
	buffer_load_dword v44, v252, s[20:23], 0 idxen             // 000000006CBC: E0502000 80052CFC
	v_mfma_f32_16x16x16_bf16 v[128:131], v[68:69], a[88:89], v[128:131]// 000000006CC4: D3E10080 1602B144
	v_perm_b32 v90, v43, v42, s63                              // 000000006CCC: D1ED005A 00FE552B
	v_perm_b32 v91, v43, v42, s64                              // 000000006CD4: D1ED005B 0102552B
	v_mfma_f32_16x16x16_bf16 v[128:131], v[70:71], a[92:93], v[128:131]// 000000006CDC: D3E10080 1602B946
	ds_read_b128 v[96:99], v10 offset:9216                     // 000000006CE4: D9FE2400 6000000A
	buffer_load_dword v45, v253, s[20:23], 0 idxen             // 000000006CEC: E0502000 80052DFD
	v_mfma_f32_16x16x16_bf16 v[132:135], v[48:49], a[50:51], 0 // 000000006CF4: D3E10084 12026530
	v_mov_b32_dpp v127, v124 quad_perm:[3,3,3,3] row_mask:0xf bank_mask:0xf// 000000006CFC: 7EFE02FA FF00FF7C
	v_mov_b32_dpp v126, v124 quad_perm:[2,2,2,2] row_mask:0xf bank_mask:0xf// 000000006D04: 7EFC02FA FF00AA7C
	v_mfma_f32_16x16x16_bf16 v[132:135], v[50:51], a[54:55], v[132:135]// 000000006D0C: D3E10084 16126D32
	ds_read_b128 v[100:103], v10 offset:10880                  // 000000006D14: D9FE2A80 6400000A
	buffer_load_dword v46, v254, s[20:23], 0 idxen             // 000000006D1C: E0502000 80052EFE
	v_mfma_f32_16x16x16_bf16 v[132:135], v[52:53], a[58:59], v[132:135]// 000000006D24: D3E10084 16127534
	v_mov_b32_dpp v125, v124 quad_perm:[1,1,1,1] row_mask:0xf bank_mask:0xf// 000000006D2C: 7EFA02FA FF00557C
	v_mov_b32_dpp v124, v124 quad_perm:[0,0,0,0] row_mask:0xf bank_mask:0xf// 000000006D34: 7EF802FA FF00007C
	s_add_u32 s60, 64, s59                                     // 000000006D3C: 803C3BC0
	v_mfma_f32_16x16x16_bf16 v[132:135], v[54:55], a[62:63], v[132:135]// 000000006D40: D3E10084 16127D36
	ds_read_b128 v[104:107], v10 offset:11392                  // 000000006D48: D9FE2C80 6800000A
	buffer_load_dword v47, v255, s[20:23], 0 idxen             // 000000006D50: E0502000 80052FFF
	v_mfma_f32_16x16x16_bf16 v[132:135], v[56:57], a[66:67], v[132:135]// 000000006D58: D3E10084 16128538
	s_cmp_lt_u32 s60, s58                                      // 000000006D60: BF0A3A3C
	s_cselect_b32 s68, s68, 0                                  // 000000006D64: 85448044
	s_cselect_b32 s100, s100, 0                                // 000000006D68: 85648064
	s_cselect_b32 s69, s69, 0                                  // 000000006D6C: 85458045
	v_mfma_f32_16x16x16_bf16 v[132:135], v[58:59], a[70:71], v[132:135]// 000000006D70: D3E10084 16128D3A
	buffer_load_dword v9, s[24:27], 0 idxen lds                // 000000006D78: E0512000 80060009
	v_mfma_f32_16x16x16_bf16 v[132:135], v[60:61], a[74:75], v[132:135]// 000000006D80: D3E10084 1612953C
	v_add_u32_e32 v1, s68, v1                                  // 000000006D88: 68020244
	v_add_u32_e32 v2, s68, v2                                  // 000000006D8C: 68040444
	v_add_u32_e32 v3, s68, v3                                  // 000000006D90: 68060644
	v_add_u32_e32 v4, s68, v4                                  // 000000006D94: 68080844
	v_mfma_f32_16x16x16_bf16 v[132:135], v[62:63], a[78:79], v[132:135]// 000000006D98: D3E10084 16129D3E
	v_add_u32_e32 v252, s100, v252                             // 000000006DA0: 69F9F864
	v_add_u32_e32 v253, s100, v253                             // 000000006DA4: 69FBFA64
	v_add_u32_e32 v254, s100, v254                             // 000000006DA8: 69FDFC64
	v_add_u32_e32 v255, s100, v255                             // 000000006DAC: 69FFFE64
	v_mfma_f32_16x16x16_bf16 v[132:135], v[64:65], a[82:83], v[132:135]// 000000006DB0: D3E10084 1612A540
	s_mov_b32 m0, s80                                          // 000000006DB8: BEFC0050
	v_add_u32_e32 v9, s69, v9                                  // 000000006DBC: 68121245
	v_mfma_f32_16x16x16_bf16 v[132:135], v[66:67], a[86:87], v[132:135]// 000000006DC0: D3E10084 1612AD42
	s_cmp_ge_u32 s59, s73                                      // 000000006DC8: BF09493B
	s_cselect_b32 s66, s67, s66                                // 000000006DCC: 85424243
	v_mfma_f32_16x16x16_bf16 v[132:135], v[68:69], a[90:91], v[132:135]// 000000006DD0: D3E10084 1612B544
	s_addk_i32 s59, 0x10                                       // 000000006DD8: B73B0010
	s_nop 0                                                    // 000000006DDC: BF800000
	s_cmp_lt_i32 s59, s58                                      // 000000006DE0: BF043A3B
	v_mfma_f32_16x16x16_bf16 v[132:135], v[70:71], a[94:95], v[132:135]// 000000006DE4: D3E10084 1612BD46
	s_cbranch_scc0 label_0F66                                  // 000000006DEC: BF840360
	s_waitcnt lgkmcnt(0)                                       // 000000006DF0: BF8CC07F
	s_barrier                                                  // 000000006DF4: BF8A0000
	v_mfma_f32_16x16x16_bf16 v[48:51], a[144:145], a[0:1], 0   // 000000006DF8: D3E10030 1A020190
	ds_write_b32 v11, v40 offset:8704                          // 000000006E00: D81A2200 0000280B
	ds_write_b32 v11, v41 offset:9760                          // 000000006E08: D81A2620 0000290B
	v_mfma_f32_16x16x16_bf16 v[48:51], a[146:147], a[2:3], v[48:51]// 000000006E10: D3E10030 1CC20592
	v_mul_f32_e32 v128, s47, v128                              // 000000006E18: 0B01002F
	v_mul_f32_e32 v129, s47, v129                              // 000000006E1C: 0B03022F
	v_mfma_f32_16x16x16_bf16 v[48:51], a[148:149], a[4:5], v[48:51]// 000000006E20: D3E10030 1CC20994
	ds_write_b32 v11, v42 offset:8832                          // 000000006E28: D81A2280 00002A0B
	ds_write_b32 v11, v43 offset:9888                          // 000000006E30: D81A26A0 00002B0B
	v_mfma_f32_16x16x16_bf16 v[48:51], a[150:151], a[6:7], v[48:51]// 000000006E38: D3E10030 1CC20D96
	v_mul_f32_e32 v130, s47, v130                              // 000000006E40: 0B05042F
	v_mul_f32_e32 v131, s47, v131                              // 000000006E44: 0B07062F
	v_mfma_f32_16x16x16_bf16 v[48:51], a[152:153], a[8:9], v[48:51]// 000000006E48: D3E10030 1CC21198
	ds_write_b64 v20, v[128:129] offset:24320                  // 000000006E50: D89A5F00 00008014
	v_mfma_f32_16x16x16_bf16 v[48:51], a[154:155], a[10:11], v[48:51]// 000000006E58: D3E10030 1CC2159A
	v_mul_f32_e32 v132, s47, v132                              // 000000006E60: 0B09082F
	v_mul_f32_e32 v133, s47, v133                              // 000000006E64: 0B0B0A2F
	v_mfma_f32_16x16x16_bf16 v[48:51], a[156:157], a[12:13], v[48:51]// 000000006E68: D3E10030 1CC2199C
	ds_write_b64 v20, v[130:131] offset:24832                  // 000000006E70: D89A6100 00008214
	v_mfma_f32_16x16x16_bf16 v[48:51], a[158:159], a[14:15], v[48:51]// 000000006E78: D3E10030 1CC21D9E
	v_mul_f32_e32 v134, s47, v134                              // 000000006E80: 0B0D0C2F
	v_mul_f32_e32 v135, s47, v135                              // 000000006E84: 0B0F0E2F
	v_mfma_f32_16x16x16_bf16 v[52:55], a[144:145], a[16:17], 0 // 000000006E88: D3E10034 1A022190
	ds_write_b64 v20, v[132:133] offset:25344                  // 000000006E90: D89A6300 00008414
	v_mfma_f32_16x16x16_bf16 v[52:55], a[146:147], a[18:19], v[52:55]// 000000006E98: D3E10034 1CD22592
	buffer_atomic_add_f32 v140, v7, s[32:35], 0 offen offset:256// 000000006EA0: E1341100 80088C07
	v_mfma_f32_16x16x16_bf16 v[52:55], a[148:149], a[20:21], v[52:55]// 000000006EA8: D3E10034 1CD22994
	ds_write_b64 v20, v[134:135] offset:25856                  // 000000006EB0: D89A6500 00008614
	v_mfma_f32_16x16x16_bf16 v[52:55], a[150:151], a[22:23], v[52:55]// 000000006EB8: D3E10034 1CD22D96
	v_mfma_f32_16x16x16_bf16 v[52:55], a[152:153], a[24:25], v[52:55]// 000000006EC0: D3E10034 1CD23198
	ds_read_b128 v[108:111], v12 offset:13056                  // 000000006EC8: D9FE3300 6C00000C
	ds_write_b32 v11, v32                                      // 000000006ED0: D81A0000 0000200B
	v_mfma_f32_16x16x16_bf16 v[52:55], a[154:155], a[26:27], v[52:55]// 000000006ED8: D3E10034 1CD2359A
	buffer_atomic_add_f32 v141, v8, s[32:35], 0 offen offset:256// 000000006EE0: E1341100 80088D08
	v_mfma_f32_16x16x16_bf16 v[52:55], a[156:157], a[28:29], v[52:55]// 000000006EE8: D3E10034 1CD2399C
	v_mfma_f32_16x16x16_bf16 v[52:55], a[158:159], a[30:31], v[52:55]// 000000006EF0: D3E10034 1CD23D9E
	ds_read_b128 v[112:115], v12 offset:13568                  // 000000006EF8: D9FE3500 7000000C
	ds_write_b32 v11, v33 offset:1056                          // 000000006F00: D81A0420 0000210B
	v_mfma_f32_16x16x16_bf16 v[56:59], a[144:145], a[32:33], 0 // 000000006F08: D3E10038 1A024190
	buffer_atomic_add_f32 v142, v7, s[32:35], 0 offen offset:384// 000000006F10: E1341180 80088E07
	v_mfma_f32_16x16x16_bf16 v[56:59], a[146:147], a[34:35], v[56:59]// 000000006F18: D3E10038 1CE24592
	v_mfma_f32_16x16x16_bf16 v[56:59], a[148:149], a[36:37], v[56:59]// 000000006F20: D3E10038 1CE24994
	ds_read_b128 v[116:119], v12 offset:15232                  // 000000006F28: D9FE3B80 7400000C
	ds_write_b32 v11, v34 offset:128                           // 000000006F30: D81A0080 0000220B
	v_mfma_f32_16x16x16_bf16 v[56:59], a[150:151], a[38:39], v[56:59]// 000000006F38: D3E10038 1CE24D96
	v_mfma_f32_16x16x16_bf16 v[56:59], a[152:153], a[40:41], v[56:59]// 000000006F40: D3E10038 1CE25198
	buffer_atomic_add_f32 v143, v8, s[32:35], 0 offen offset:384// 000000006F48: E1341180 80088F08
	v_mfma_f32_16x16x16_bf16 v[56:59], a[154:155], a[42:43], v[56:59]// 000000006F50: D3E10038 1CE2559A
	ds_read_b128 v[120:123], v12 offset:15744                  // 000000006F58: D9FE3D80 7800000C
	ds_write_b32 v11, v35 offset:1184                          // 000000006F60: D81A04A0 0000230B
	v_mfma_f32_16x16x16_bf16 v[56:59], a[156:157], a[44:45], v[56:59]// 000000006F68: D3E10038 1CE2599C
	v_mfma_f32_16x16x16_bf16 v[56:59], a[158:159], a[46:47], v[56:59]// 000000006F70: D3E10038 1CE25D9E
	s_cmp_eq_i32 s88, 0                                        // 000000006F78: BF008058
	s_cbranch_scc1 label_0CF9                                  // 000000006F7C: BF85008F
	s_cmp_lt_i32 s74, 12                                       // 000000006F80: BF048C4A
	s_cbranch_scc0 label_0CA4                                  // 000000006F84: BF84003D
	s_lshl_b32 s60, s74, 4                                     // 000000006F88: 8E3C844A
	v_sub_i32 v28, v25, s60                                    // 000000006F8C: D29D001C 00007919
	s_mov_b32 s61, 0                                           // 000000006F94: BEBD0080
	v_add_i32 v29, v28, s61                                    // 000000006F98: D29C001D 00007B1C
	v_cmp_gt_i32_e64 s[60:61], v29, 0                          // 000000006FA0: D0C4003C 0001011D
	v_cmp_gt_i32_e64 s[70:71], v29, 1                          // 000000006FA8: D0C40046 0001031D
	v_cndmask_b32_e64 v48, v48, v151, s[60:61]                 // 000000006FB0: D1000030 00F32F30
	v_cndmask_b32_e64 v49, v49, v151, s[70:71]                 // 000000006FB8: D1000031 011B2F31
	v_cmp_gt_i32_e64 s[60:61], v29, 2                          // 000000006FC0: D0C4003C 0001051D
	v_cmp_gt_i32_e64 s[70:71], v29, 3                          // 000000006FC8: D0C40046 0001071D
	v_cndmask_b32_e64 v50, v50, v151, s[60:61]                 // 000000006FD0: D1000032 00F32F32
	v_cndmask_b32_e64 v51, v51, v151, s[70:71]                 // 000000006FD8: D1000033 011B2F33
	s_mov_b32 s61, 64                                          // 000000006FE0: BEBD00C0
	v_add_i32 v29, v28, s61                                    // 000000006FE4: D29C001D 00007B1C
	v_cmp_gt_i32_e64 s[60:61], v29, 0                          // 000000006FEC: D0C4003C 0001011D
	v_cmp_gt_i32_e64 s[70:71], v29, 1                          // 000000006FF4: D0C40046 0001031D
	v_cndmask_b32_e64 v52, v52, v151, s[60:61]                 // 000000006FFC: D1000034 00F32F34
	v_cndmask_b32_e64 v53, v53, v151, s[70:71]                 // 000000007004: D1000035 011B2F35
	v_cmp_gt_i32_e64 s[60:61], v29, 2                          // 00000000700C: D0C4003C 0001051D
	v_cmp_gt_i32_e64 s[70:71], v29, 3                          // 000000007014: D0C40046 0001071D
	v_cndmask_b32_e64 v54, v54, v151, s[60:61]                 // 00000000701C: D1000036 00F32F36
	v_cndmask_b32_e64 v55, v55, v151, s[70:71]                 // 000000007024: D1000037 011B2F37
	s_mov_b32 s61, 0x80                                        // 00000000702C: BEBD00FF 00000080
	v_add_i32 v29, v28, s61                                    // 000000007034: D29C001D 00007B1C
	v_cmp_gt_i32_e64 s[60:61], v29, 0                          // 00000000703C: D0C4003C 0001011D
	v_cmp_gt_i32_e64 s[70:71], v29, 1                          // 000000007044: D0C40046 0001031D
	v_cndmask_b32_e64 v56, v56, v151, s[60:61]                 // 00000000704C: D1000038 00F32F38
	v_cndmask_b32_e64 v57, v57, v151, s[70:71]                 // 000000007054: D1000039 011B2F39
	v_cmp_gt_i32_e64 s[60:61], v29, 2                          // 00000000705C: D0C4003C 0001051D
	v_cmp_gt_i32_e64 s[70:71], v29, 3                          // 000000007064: D0C40046 0001071D
	v_cndmask_b32_e64 v58, v58, v151, s[60:61]                 // 00000000706C: D100003A 00F32F3A
	v_cndmask_b32_e64 v59, v59, v151, s[70:71]                 // 000000007074: D100003B 011B2F3B

000000000000707c <label_0CA4>:
	s_cmp_lt_i32 s84, 0xc0                                     // 00000000707C: BF04FF54 000000C0
	s_cbranch_scc0 label_0CF9                                  // 000000007084: BF84004D
	s_cmp_le_i32 s84, 64                                       // 000000007088: BF05C054
	s_cbranch_scc1 label_0CB0                                  // 00000000708C: BF850007
	s_cmp_le_i32 s84, 0x80                                     // 000000007090: BF05FF54 00000080
	s_cbranch_scc1 label_0CC8                                  // 000000007098: BF850017
	s_cmp_lt_i32 s84, 0xc0                                     // 00000000709C: BF04FF54 000000C0
	s_cbranch_scc1 label_0CE0                                  // 0000000070A4: BF85002C
	s_branch label_0CF9                                        // 0000000070A8: BF820044

00000000000070ac <label_0CB0>:
	s_mov_b32 s60, 0                                           // 0000000070AC: BEBC0080
	v_and_b32_e32 v28, 15, v0                                  // 0000000070B0: 2638008F
	v_add_u32_e64 v28, v28, s60                                // 0000000070B4: D134001C 0000791C
	v_mul_i32_i24_e64 v29, s46, 16                             // 0000000070BC: D106001D 0001202E
	v_add_u32_e32 v28, v28, v29                                // 0000000070C4: 68383B1C
	v_cmp_lt_u32_e64 s[60:61], v28, s84                        // 0000000070C8: D0C9003C 0000A91C
	s_nop 1                                                    // 0000000070D0: BF800001
	v_cndmask_b32_e64 v48, v151, v48, s[60:61]                 // 0000000070D4: D1000030 00F26197
	v_cndmask_b32_e64 v49, v151, v49, s[60:61]                 // 0000000070DC: D1000031 00F26397
	v_cndmask_b32_e64 v50, v151, v50, s[60:61]                 // 0000000070E4: D1000032 00F26597
	v_cndmask_b32_e64 v51, v151, v51, s[60:61]                 // 0000000070EC: D1000033 00F26797
	s_branch label_0CDB                                        // 0000000070F4: BF820013

00000000000070f8 <label_0CC8>:
	s_mov_b32 s60, 64                                          // 0000000070F8: BEBC00C0
	v_and_b32_e32 v28, 15, v0                                  // 0000000070FC: 2638008F
	v_add_u32_e64 v28, v28, s60                                // 000000007100: D134001C 0000791C
	v_mul_i32_i24_e64 v29, s46, 16                             // 000000007108: D106001D 0001202E
	v_add_u32_e32 v28, v28, v29                                // 000000007110: 68383B1C
	v_cmp_lt_u32_e64 s[60:61], v28, s84                        // 000000007114: D0C9003C 0000A91C
	s_nop 1                                                    // 00000000711C: BF800001
	v_cndmask_b32_e64 v52, v151, v52, s[60:61]                 // 000000007120: D1000034 00F26997
	v_cndmask_b32_e64 v53, v151, v53, s[60:61]                 // 000000007128: D1000035 00F26B97
	v_cndmask_b32_e64 v54, v151, v54, s[60:61]                 // 000000007130: D1000036 00F26D97
	v_cndmask_b32_e64 v55, v151, v55, s[60:61]                 // 000000007138: D1000037 00F26F97
	s_branch label_0CF4                                        // 000000007140: BF820019

0000000000007144 <label_0CDB>:
	v_mov_b32_e32 v52, v151                                    // 000000007144: 7E680397
	v_mov_b32_e32 v53, v151                                    // 000000007148: 7E6A0397
	v_mov_b32_e32 v54, v151                                    // 00000000714C: 7E6C0397
	v_mov_b32_e32 v55, v151                                    // 000000007150: 7E6E0397
	s_branch label_0CF4                                        // 000000007154: BF820014

0000000000007158 <label_0CE0>:
	s_mov_b32 s60, 0x80                                        // 000000007158: BEBC00FF 00000080
	v_and_b32_e32 v28, 15, v0                                  // 000000007160: 2638008F
	v_add_u32_e64 v28, v28, s60                                // 000000007164: D134001C 0000791C
	v_mul_i32_i24_e64 v29, s46, 16                             // 00000000716C: D106001D 0001202E
	v_add_u32_e32 v28, v28, v29                                // 000000007174: 68383B1C
	v_cmp_lt_u32_e64 s[60:61], v28, s84                        // 000000007178: D0C9003C 0000A91C
	s_nop 1                                                    // 000000007180: BF800001
	v_cndmask_b32_e64 v56, v151, v56, s[60:61]                 // 000000007184: D1000038 00F27197
	v_cndmask_b32_e64 v57, v151, v57, s[60:61]                 // 00000000718C: D1000039 00F27397
	v_cndmask_b32_e64 v58, v151, v58, s[60:61]                 // 000000007194: D100003A 00F27597
	v_cndmask_b32_e64 v59, v151, v59, s[60:61]                 // 00000000719C: D100003B 00F27797
	s_branch label_0CF9                                        // 0000000071A4: BF820005

00000000000071a8 <label_0CF4>:
	v_mov_b32_e32 v56, v151                                    // 0000000071A8: 7E700397
	v_mov_b32_e32 v57, v151                                    // 0000000071AC: 7E720397
	v_mov_b32_e32 v58, v151                                    // 0000000071B0: 7E740397
	v_mov_b32_e32 v59, v151                                    // 0000000071B4: 7E760397
	s_branch label_0CF9                                        // 0000000071B8: BF820000

00000000000071bc <label_0CF9>:
	s_addk_i32 s74, 0x1                                        // 0000000071BC: B74A0001
	s_waitcnt lgkmcnt(8)                                       // 0000000071C0: BF8CC87F
	s_barrier                                                  // 0000000071C4: BF8A0000
	v_mfma_f32_16x16x16_bf16 v[72:75], v[92:93], a[96:97], 0   // 0000000071C8: D3E10048 1202C15C
	ds_read_b128 a[144:147], v12 offset:4352                   // 0000000071D0: DBFE1100 9000000C
	ds_read_b128 a[148:151], v12 offset:4864                   // 0000000071D8: DBFE1300 9400000C
	v_mfma_f32_16x16x16_bf16 v[72:75], v[94:95], a[98:99], v[72:75]// 0000000071E0: D3E10048 1522C55E
	v_fma_f32 v48, v48, s57, -v124                             // 0000000071E8: D1CB0030 85F07330
	v_fma_f32 v49, v49, s57, -v125                             // 0000000071F0: D1CB0031 85F47331
	v_fma_f32 v50, v50, s57, -v126                             // 0000000071F8: D1CB0032 85F87332
	v_mfma_f32_16x16x16_bf16 v[72:75], v[96:97], a[100:101], v[72:75]// 000000007200: D3E10048 1522C960
	v_fma_f32 v51, v51, s57, -v127                             // 000000007208: D1CB0033 85FC7333
	v_fma_f32 v52, v52, s57, -v124                             // 000000007210: D1CB0034 85F07334
	v_fma_f32 v53, v53, s57, -v125                             // 000000007218: D1CB0035 85F47335
	v_mfma_f32_16x16x16_bf16 v[72:75], v[98:99], a[102:103], v[72:75]// 000000007220: D3E10048 1522CD62
	v_fma_f32 v54, v54, s57, -v126                             // 000000007228: D1CB0036 85F87336
	v_fma_f32 v55, v55, s57, -v127                             // 000000007230: D1CB0037 85FC7337
	v_fma_f32 v56, v56, s57, -v124                             // 000000007238: D1CB0038 85F07338
	v_mfma_f32_16x16x16_bf16 v[72:75], v[100:101], a[104:105], v[72:75]// 000000007240: D3E10048 1522D164
	ds_read_b128 a[152:155], v12 offset:6528                   // 000000007248: DBFE1980 9800000C
	ds_read_b128 a[156:159], v12 offset:7040                   // 000000007250: DBFE1B80 9C00000C
	v_mfma_f32_16x16x16_bf16 v[72:75], v[102:103], a[106:107], v[72:75]// 000000007258: D3E10048 1522D566
	v_fma_f32 v57, v57, s57, -v125                             // 000000007260: D1CB0039 85F47339
	v_fma_f32 v58, v58, s57, -v126                             // 000000007268: D1CB003A 85F8733A
	v_fma_f32 v59, v59, s57, -v127                             // 000000007270: D1CB003B 85FC733B
	v_mfma_f32_16x16x16_bf16 v[72:75], v[104:105], a[108:109], v[72:75]// 000000007278: D3E10048 1522D968
	v_exp_f32_e32 v48, v48                                     // 000000007280: 7E604130
	v_mfma_f32_16x16x16_bf16 v[72:75], v[106:107], a[110:111], v[72:75]// 000000007284: D3E10048 1522DD6A
	v_exp_f32_e32 v49, v49                                     // 00000000728C: 7E624131
	v_mfma_f32_16x16x16_bf16 v[76:79], v[92:93], a[112:113], 0 // 000000007290: D3E1004C 1202E15C
	ds_read_b64 v[136:137], v19 offset:24320                   // 000000007298: D8EC5F00 88000013
	ds_read_b64 v[138:139], v19 offset:26368                   // 0000000072A0: D8EC6700 8A000013
	v_mfma_f32_16x16x16_bf16 v[76:79], v[94:95], a[114:115], v[76:79]// 0000000072A8: D3E1004C 1532E55E
	v_exp_f32_e32 v50, v50                                     // 0000000072B0: 7E644132
	v_mfma_f32_16x16x16_bf16 v[76:79], v[96:97], a[116:117], v[76:79]// 0000000072B4: D3E1004C 1532E960
	ds_read_b64 v[140:141], v19 offset:28416                   // 0000000072BC: D8EC6F00 8C000013
	ds_read_b64 v[142:143], v19 offset:30464                   // 0000000072C4: D8EC7700 8E000013
	v_mfma_f32_16x16x16_bf16 v[76:79], v[98:99], a[118:119], v[76:79]// 0000000072CC: D3E1004C 1532ED62
	v_exp_f32_e32 v51, v51                                     // 0000000072D4: 7E664133
	v_mfma_f32_16x16x16_bf16 v[76:79], v[100:101], a[120:121], v[76:79]// 0000000072D8: D3E1004C 1532F164
	v_exp_f32_e32 v52, v52                                     // 0000000072E0: 7E684134
	v_mfma_f32_16x16x16_bf16 v[76:79], v[102:103], a[122:123], v[76:79]// 0000000072E4: D3E1004C 1532F566
	v_exp_f32_e32 v53, v53                                     // 0000000072EC: 7E6A4135
	v_mfma_f32_16x16x16_bf16 v[76:79], v[104:105], a[124:125], v[76:79]// 0000000072F0: D3E1004C 1532F968
	v_exp_f32_e32 v54, v54                                     // 0000000072F8: 7E6C4136
	v_mfma_f32_16x16x16_bf16 v[76:79], v[106:107], a[126:127], v[76:79]// 0000000072FC: D3E1004C 1532FD6A
	v_exp_f32_e32 v55, v55                                     // 000000007304: 7E6E4137
	v_mfma_f32_16x16x16_bf16 v[80:83], v[92:93], a[128:129], 0 // 000000007308: D3E10050 1203015C
	v_exp_f32_e32 v56, v56                                     // 000000007310: 7E704138
	v_mfma_f32_16x16x16_bf16 v[80:83], v[94:95], a[130:131], v[80:83]// 000000007314: D3E10050 1543055E
	v_exp_f32_e32 v57, v57                                     // 00000000731C: 7E724139
	v_mfma_f32_16x16x16_bf16 v[80:83], v[96:97], a[132:133], v[80:83]// 000000007320: D3E10050 15430960
	v_exp_f32_e32 v58, v58                                     // 000000007328: 7E74413A
	v_mfma_f32_16x16x16_bf16 v[80:83], v[98:99], a[134:135], v[80:83]// 00000000732C: D3E10050 15430D62
	v_exp_f32_e32 v59, v59                                     // 000000007334: 7E76413B
	v_mfma_f32_16x16x16_bf16 v[80:83], v[100:101], a[136:137], v[80:83]// 000000007338: D3E10050 15431164
	v_cmp_u_f32_e64 s[78:79], v48, v48                         // 000000007340: D048004E 00026130
	v_add3_u32 v248, v48, v251, 1                              // 000000007348: D1FF00F8 0207F730
	v_cndmask_b32_e64 v28, v248, v250, s[78:79]                // 000000007350: D100001C 013BF5F8
	v_cmp_u_f32_e64 s[78:79], v49, v49                         // 000000007358: D048004E 00026331
	v_add3_u32 v248, v49, v251, 1                              // 000000007360: D1FF00F8 0207F731
	v_cndmask_b32_e64 v29, v248, v250, s[78:79]                // 000000007368: D100001D 013BF5F8
	v_perm_b32 v144, v29, v28, s64                             // 000000007370: D1ED0090 0102391D
	v_cmp_u_f32_e64 s[78:79], v50, v50                         // 000000007378: D048004E 00026532
	v_add3_u32 v248, v50, v251, 1                              // 000000007380: D1FF00F8 0207F732
	v_cndmask_b32_e64 v28, v248, v250, s[78:79]                // 000000007388: D100001C 013BF5F8
	v_cmp_u_f32_e64 s[78:79], v51, v51                         // 000000007390: D048004E 00026733
	v_add3_u32 v248, v51, v251, 1                              // 000000007398: D1FF00F8 0207F733
	v_cndmask_b32_e64 v29, v248, v250, s[78:79]                // 0000000073A0: D100001D 013BF5F8
	v_perm_b32 v145, v29, v28, s64                             // 0000000073A8: D1ED0091 0102391D
	v_cmp_u_f32_e64 s[78:79], v52, v52                         // 0000000073B0: D048004E 00026934
	v_add3_u32 v248, v52, v251, 1                              // 0000000073B8: D1FF00F8 0207F734
	v_cndmask_b32_e64 v28, v248, v250, s[78:79]                // 0000000073C0: D100001C 013BF5F8
	v_cmp_u_f32_e64 s[78:79], v53, v53                         // 0000000073C8: D048004E 00026B35
	v_add3_u32 v248, v53, v251, 1                              // 0000000073D0: D1FF00F8 0207F735
	v_cndmask_b32_e64 v29, v248, v250, s[78:79]                // 0000000073D8: D100001D 013BF5F8
	v_perm_b32 v146, v29, v28, s64                             // 0000000073E0: D1ED0092 0102391D
	v_mfma_f32_16x16x16_bf16 v[80:83], v[102:103], a[138:139], v[80:83]// 0000000073E8: D3E10050 15431566
	v_cmp_u_f32_e64 s[78:79], v54, v54                         // 0000000073F0: D048004E 00026D36
	v_add3_u32 v248, v54, v251, 1                              // 0000000073F8: D1FF00F8 0207F736
	v_cndmask_b32_e64 v28, v248, v250, s[78:79]                // 000000007400: D100001C 013BF5F8
	v_cmp_u_f32_e64 s[78:79], v55, v55                         // 000000007408: D048004E 00026F37
	v_add3_u32 v248, v55, v251, 1                              // 000000007410: D1FF00F8 0207F737
	v_cndmask_b32_e64 v29, v248, v250, s[78:79]                // 000000007418: D100001D 013BF5F8
	v_perm_b32 v147, v29, v28, s64                             // 000000007420: D1ED0093 0102391D
	v_cmp_u_f32_e64 s[78:79], v56, v56                         // 000000007428: D048004E 00027138
	v_add3_u32 v248, v56, v251, 1                              // 000000007430: D1FF00F8 0207F738
	v_cndmask_b32_e64 v28, v248, v250, s[78:79]                // 000000007438: D100001C 013BF5F8
	v_cmp_u_f32_e64 s[78:79], v57, v57                         // 000000007440: D048004E 00027339
	v_add3_u32 v248, v57, v251, 1                              // 000000007448: D1FF00F8 0207F739
	v_cndmask_b32_e64 v29, v248, v250, s[78:79]                // 000000007450: D100001D 013BF5F8
	v_perm_b32 v148, v29, v28, s64                             // 000000007458: D1ED0094 0102391D
	v_cmp_u_f32_e64 s[78:79], v58, v58                         // 000000007460: D048004E 0002753A
	v_add3_u32 v248, v58, v251, 1                              // 000000007468: D1FF00F8 0207F73A
	v_cndmask_b32_e64 v28, v248, v250, s[78:79]                // 000000007470: D100001C 013BF5F8
	v_cmp_u_f32_e64 s[78:79], v59, v59                         // 000000007478: D048004E 0002773B
	v_add3_u32 v248, v59, v251, 1                              // 000000007480: D1FF00F8 0207F73B
	v_cndmask_b32_e64 v29, v248, v250, s[78:79]                // 000000007488: D100001D 013BF5F8
	v_perm_b32 v149, v29, v28, s64                             // 000000007490: D1ED0095 0102391D
	v_mfma_f32_16x16x16_bf16 v[80:83], v[104:105], a[140:141], v[80:83]// 000000007498: D3E10050 15431968
	v_add_u32_e32 v7, s66, v7                                  // 0000000074A0: 680E0E42
	v_add_u32_e32 v8, s66, v8                                  // 0000000074A4: 68101042
	v_mfma_f32_16x16x16_bf16 v[80:83], v[106:107], a[142:143], v[80:83]// 0000000074A8: D3E10050 15431D6A
	s_waitcnt lgkmcnt(0)                                       // 0000000074B0: BF8CC07F
	s_barrier                                                  // 0000000074B4: BF8A0000
	v_mfma_f32_16x16x16_bf16 v[152:155], v[108:109], v[144:145], v[152:155]// 0000000074B8: D3E10098 0663216C
	v_subrev_f32_dpp v72, v150, v72 quad_perm:[0,0,0,0] row_mask:0xf bank_mask:0xf// 0000000074C0: 069090FA FF000096
	v_subrev_f32_dpp v73, v150, v73 quad_perm:[1,1,1,1] row_mask:0xf bank_mask:0xf// 0000000074C8: 069292FA FF005596
	v_subrev_f32_dpp v74, v150, v74 quad_perm:[2,2,2,2] row_mask:0xf bank_mask:0xf// 0000000074D0: 069494FA FF00AA96
	v_mfma_f32_16x16x16_bf16 v[156:159], v[110:111], v[144:145], v[156:159]// 0000000074D8: D3E1009C 0673216E
	v_subrev_f32_dpp v75, v150, v75 quad_perm:[3,3,3,3] row_mask:0xf bank_mask:0xf// 0000000074E0: 069696FA FF00FF96
	v_subrev_f32_dpp v76, v150, v76 quad_perm:[0,0,0,0] row_mask:0xf bank_mask:0xf// 0000000074E8: 069898FA FF000096
	v_subrev_f32_dpp v77, v150, v77 quad_perm:[1,1,1,1] row_mask:0xf bank_mask:0xf// 0000000074F0: 069A9AFA FF005596
	v_mfma_f32_16x16x16_bf16 v[160:163], v[112:113], v[144:145], v[160:163]// 0000000074F8: D3E100A0 06832170
	v_mul_f32_e32 v72, v48, v72                                // 000000007500: 0A909130
	v_mul_f32_e32 v73, v49, v73                                // 000000007504: 0A929331
	v_mul_f32_e32 v74, v50, v74                                // 000000007508: 0A949532
	v_mfma_f32_16x16x16_bf16 v[164:167], v[114:115], v[144:145], v[164:167]// 00000000750C: D3E100A4 06932172
	v_mul_f32_e32 v75, v51, v75                                // 000000007514: 0A969733
	v_mul_f32_e32 v76, v52, v76                                // 000000007518: 0A989934
	v_mul_f32_e32 v77, v53, v77                                // 00000000751C: 0A9A9B35
	v_mfma_f32_16x16x16_bf16 v[168:171], v[116:117], v[144:145], v[168:171]// 000000007520: D3E100A8 06A32174
	v_cmp_u_f32_e64 s[78:79], v72, v72                         // 000000007528: D048004E 00029148
	v_add3_u32 v248, v72, v251, 1                              // 000000007530: D1FF00F8 0207F748
	v_cndmask_b32_e64 v28, v248, v250, s[78:79]                // 000000007538: D100001C 013BF5F8
	v_cmp_u_f32_e64 s[78:79], v73, v73                         // 000000007540: D048004E 00029349
	v_add3_u32 v248, v73, v251, 1                              // 000000007548: D1FF00F8 0207F749
	v_cndmask_b32_e64 v29, v248, v250, s[78:79]                // 000000007550: D100001D 013BF5F8
	v_perm_b32 v72, v29, v28, s64                              // 000000007558: D1ED0048 0102391D
	v_cmp_u_f32_e64 s[78:79], v74, v74                         // 000000007560: D048004E 0002954A
	v_add3_u32 v248, v74, v251, 1                              // 000000007568: D1FF00F8 0207F74A
	v_cndmask_b32_e64 v28, v248, v250, s[78:79]                // 000000007570: D100001C 013BF5F8
	v_cmp_u_f32_e64 s[78:79], v75, v75                         // 000000007578: D048004E 0002974B
	v_add3_u32 v248, v75, v251, 1                              // 000000007580: D1FF00F8 0207F74B
	v_cndmask_b32_e64 v29, v248, v250, s[78:79]                // 000000007588: D100001D 013BF5F8
	v_perm_b32 v73, v29, v28, s64                              // 000000007590: D1ED0049 0102391D
	v_cmp_u_f32_e64 s[78:79], v76, v76                         // 000000007598: D048004E 0002994C
	v_add3_u32 v248, v76, v251, 1                              // 0000000075A0: D1FF00F8 0207F74C
	v_cndmask_b32_e64 v28, v248, v250, s[78:79]                // 0000000075A8: D100001C 013BF5F8
	v_cmp_u_f32_e64 s[78:79], v77, v77                         // 0000000075B0: D048004E 00029B4D
	v_add3_u32 v248, v77, v251, 1                              // 0000000075B8: D1FF00F8 0207F74D
	v_cndmask_b32_e64 v29, v248, v250, s[78:79]                // 0000000075C0: D100001D 013BF5F8
	v_perm_b32 v74, v29, v28, s64                              // 0000000075C8: D1ED004A 0102391D
	v_mfma_f32_16x16x16_bf16 v[172:175], v[118:119], v[144:145], v[172:175]// 0000000075D0: D3E100AC 06B32176
	v_mov_b32_dpp v16, v72 quad_perm:[1,0,3,2] row_mask:0xf bank_mask:0xf// 0000000075D8: 7E2002FA FF00B148
	v_perm_b32 v48, v16, v72, v15                              // 0000000075E0: D1ED0030 043E9110
	v_mov_b32_dpp v16, v73 quad_perm:[1,0,3,2] row_mask:0xf bank_mask:0xf// 0000000075E8: 7E2002FA FF00B149
	v_mfma_f32_16x16x16_bf16 v[176:179], v[120:121], v[144:145], v[176:179]// 0000000075F0: D3E100B0 06C32178
	v_perm_b32 v49, v16, v73, v15                              // 0000000075F8: D1ED0031 043E9310
	v_mov_b32_dpp v16, v74 quad_perm:[1,0,3,2] row_mask:0xf bank_mask:0xf// 000000007600: 7E2002FA FF00B14A
	v_perm_b32 v50, v16, v74, v15                              // 000000007608: D1ED0032 043E9510
	v_mfma_f32_16x16x16_bf16 v[180:183], v[122:123], v[144:145], v[180:183]// 000000007610: D3E100B4 06D3217A
	ds_write_b32 v18, v48 offset:17408                         // 000000007618: D81A4400 00003012
	v_mfma_f32_16x16x16_bf16 v[184:187], v[108:109], v[146:147], v[184:187]// 000000007620: D3E100B8 06E3256C
	v_subrev_f32_dpp v78, v150, v78 quad_perm:[2,2,2,2] row_mask:0xf bank_mask:0xf// 000000007628: 069C9CFA FF00AA96
	v_subrev_f32_dpp v79, v150, v79 quad_perm:[3,3,3,3] row_mask:0xf bank_mask:0xf// 000000007630: 069E9EFA FF00FF96
	v_subrev_f32_dpp v80, v150, v80 quad_perm:[0,0,0,0] row_mask:0xf bank_mask:0xf// 000000007638: 06A0A0FA FF000096
	v_mfma_f32_16x16x16_bf16 v[188:191], v[110:111], v[146:147], v[188:191]// 000000007640: D3E100BC 06F3256E
	ds_write_b32 v18, v49 offset:17952                         // 000000007648: D81A4620 00003112
	v_mfma_f32_16x16x16_bf16 v[192:195], v[112:113], v[146:147], v[192:195]// 000000007650: D3E100C0 07032570
	v_subrev_f32_dpp v81, v150, v81 quad_perm:[1,1,1,1] row_mask:0xf bank_mask:0xf// 000000007658: 06A2A2FA FF005596
	v_subrev_f32_dpp v82, v150, v82 quad_perm:[2,2,2,2] row_mask:0xf bank_mask:0xf// 000000007660: 06A4A4FA FF00AA96
	v_subrev_f32_dpp v83, v150, v83 quad_perm:[3,3,3,3] row_mask:0xf bank_mask:0xf// 000000007668: 06A6A6FA FF00FF96
	v_mfma_f32_16x16x16_bf16 v[196:199], v[114:115], v[146:147], v[196:199]// 000000007670: D3E100C4 07132572
	ds_write_b32 v18, v50 offset:19712                         // 000000007678: D81A4D00 00003212
	v_mfma_f32_16x16x16_bf16 v[200:203], v[116:117], v[146:147], v[200:203]// 000000007680: D3E100C8 07232574
	v_mul_f32_e32 v78, v54, v78                                // 000000007688: 0A9C9D36
	v_mul_f32_e32 v79, v55, v79                                // 00000000768C: 0A9E9F37
	v_mul_f32_e32 v80, v56, v80                                // 000000007690: 0AA0A138
	v_mfma_f32_16x16x16_bf16 v[204:207], v[118:119], v[146:147], v[204:207]// 000000007694: D3E100CC 07332576
	v_mul_f32_e32 v81, v57, v81                                // 00000000769C: 0AA2A339
	v_mul_f32_e32 v82, v58, v82                                // 0000000076A0: 0AA4A53A
	v_mul_f32_e32 v83, v59, v83                                // 0000000076A4: 0AA6A73B
	v_mfma_f32_16x16x16_bf16 v[208:211], v[120:121], v[146:147], v[208:211]// 0000000076A8: D3E100D0 07432578
	v_cmp_u_f32_e64 s[78:79], v78, v78                         // 0000000076B0: D048004E 00029D4E
	v_add3_u32 v248, v78, v251, 1                              // 0000000076B8: D1FF00F8 0207F74E
	v_cndmask_b32_e64 v28, v248, v250, s[78:79]                // 0000000076C0: D100001C 013BF5F8
	v_cmp_u_f32_e64 s[78:79], v79, v79                         // 0000000076C8: D048004E 00029F4F
	v_add3_u32 v248, v79, v251, 1                              // 0000000076D0: D1FF00F8 0207F74F
	v_cndmask_b32_e64 v29, v248, v250, s[78:79]                // 0000000076D8: D100001D 013BF5F8
	v_perm_b32 v75, v29, v28, s64                              // 0000000076E0: D1ED004B 0102391D
	v_cmp_u_f32_e64 s[78:79], v80, v80                         // 0000000076E8: D048004E 0002A150
	v_add3_u32 v248, v80, v251, 1                              // 0000000076F0: D1FF00F8 0207F750
	v_cndmask_b32_e64 v28, v248, v250, s[78:79]                // 0000000076F8: D100001C 013BF5F8
	v_cmp_u_f32_e64 s[78:79], v81, v81                         // 000000007700: D048004E 0002A351
	v_add3_u32 v248, v81, v251, 1                              // 000000007708: D1FF00F8 0207F751
	v_cndmask_b32_e64 v29, v248, v250, s[78:79]                // 000000007710: D100001D 013BF5F8
	v_perm_b32 v76, v29, v28, s64                              // 000000007718: D1ED004C 0102391D
	v_cmp_u_f32_e64 s[78:79], v82, v82                         // 000000007720: D048004E 0002A552
	v_add3_u32 v248, v82, v251, 1                              // 000000007728: D1FF00F8 0207F752
	v_cndmask_b32_e64 v28, v248, v250, s[78:79]                // 000000007730: D100001C 013BF5F8
	v_cmp_u_f32_e64 s[78:79], v83, v83                         // 000000007738: D048004E 0002A753
	v_add3_u32 v248, v83, v251, 1                              // 000000007740: D1FF00F8 0207F753
	v_cndmask_b32_e64 v29, v248, v250, s[78:79]                // 000000007748: D100001D 013BF5F8
	v_perm_b32 v77, v29, v28, s64                              // 000000007750: D1ED004D 0102391D
	v_mfma_f32_16x16x16_bf16 v[212:215], v[122:123], v[146:147], v[212:215]// 000000007758: D3E100D4 0753257A
	v_mov_b32_dpp v16, v75 quad_perm:[1,0,3,2] row_mask:0xf bank_mask:0xf// 000000007760: 7E2002FA FF00B14B
	v_perm_b32 v51, v16, v75, v15                              // 000000007768: D1ED0033 043E9710
	v_mov_b32_dpp v16, v76 quad_perm:[1,0,3,2] row_mask:0xf bank_mask:0xf// 000000007770: 7E2002FA FF00B14C
	v_mfma_f32_16x16x16_bf16 v[216:219], v[108:109], v[148:149], v[216:219]// 000000007778: D3E100D8 0763296C
	v_perm_b32 v52, v16, v76, v15                              // 000000007780: D1ED0034 043E9910
	v_mov_b32_dpp v16, v77 quad_perm:[1,0,3,2] row_mask:0xf bank_mask:0xf// 000000007788: 7E2002FA FF00B14D
	v_perm_b32 v53, v16, v77, v15                              // 000000007790: D1ED0035 043E9B10
	v_mfma_f32_16x16x16_bf16 v[220:223], v[110:111], v[148:149], v[220:223]// 000000007798: D3E100DC 0773296E
	ds_write_b32 v18, v51 offset:20256                         // 0000000077A0: D81A4F20 00003312
	v_mfma_f32_16x16x16_bf16 v[224:227], v[112:113], v[148:149], v[224:227]// 0000000077A8: D3E100E0 07832970
	v_mfma_f32_16x16x16_bf16 v[228:231], v[114:115], v[148:149], v[228:231]// 0000000077B0: D3E100E4 07932972
	ds_write_b32 v18, v52 offset:22016                         // 0000000077B8: D81A5600 00003412
	ds_write_b32 v18, v53 offset:22560                         // 0000000077C0: D81A5820 00003512
	v_mfma_f32_16x16x16_bf16 v[232:235], v[116:117], v[148:149], v[232:235]// 0000000077C8: D3E100E8 07A32974
	v_mfma_f32_16x16x16_bf16 v[236:239], v[118:119], v[148:149], v[236:239]// 0000000077D0: D3E100EC 07B32976
	ds_write_b32 v13, v84 offset:4352                          // 0000000077D8: D81A1100 0000540D
	ds_write_b32 v13, v85 offset:5408                          // 0000000077E0: D81A1520 0000550D
	v_mfma_f32_16x16x16_bf16 v[240:243], v[120:121], v[148:149], v[240:243]// 0000000077E8: D3E100F0 07C32978
	s_nop 0                                                    // 0000000077F0: BF800000
	s_nop 0                                                    // 0000000077F4: BF800000
	s_nop 0                                                    // 0000000077F8: BF800000
	v_mfma_f32_16x16x16_bf16 v[244:247], v[122:123], v[148:149], v[244:247]// 0000000077FC: D3E100F4 07D3297A
	ds_write_b32 v13, v86 offset:4480                          // 000000007804: D81A1180 0000560D
	ds_write_b32 v13, v87 offset:5536                          // 00000000780C: D81A15A0 0000570D
	s_barrier                                                  // 000000007814: BF8A0000
	v_mfma_f32_16x16x16_bf16 a[160:163], a[144:145], v[72:73], a[160:163]// 000000007818: D3E180A0 0E829190
	buffer_atomic_add_f32 v136, v7, s[32:35], 0 offen          // 000000007820: E1341000 80088807
	v_mfma_f32_16x16x16_bf16 a[164:167], a[146:147], v[72:73], a[164:167]// 000000007828: D3E180A4 0E929192
	ds_read_b32 v124, v21 offset:50688                         // 000000007830: D86CC600 7C000015
	ds_read_b32 v150, v21 offset:50944                         // 000000007838: D86CC700 96000015
	v_mfma_f32_16x16x16_bf16 a[168:171], a[148:149], v[72:73], a[168:171]// 000000007840: D3E180A8 0EA29194
	s_waitcnt lgkmcnt(6)                                       // 000000007848: BF8CC67F
	s_barrier                                                  // 00000000784C: BF8A0000
	v_mfma_f32_16x16x16_bf16 a[172:175], a[150:151], v[72:73], a[172:175]// 000000007850: D3E180AC 0EB29196
	ds_read_b128 v[48:51], v17 offset:17408                    // 000000007858: D9FE4400 30000011
	v_mfma_f32_16x16x16_bf16 a[176:179], a[152:153], v[72:73], a[176:179]// 000000007860: D3E180B0 0EC29198
	v_mfma_f32_16x16x16_bf16 a[180:183], a[154:155], v[72:73], a[180:183]// 000000007868: D3E180B4 0ED2919A
	ds_read_b128 v[52:55], v17 offset:18560                    // 000000007870: D9FE4880 34000011
	v_mfma_f32_16x16x16_bf16 a[184:187], a[156:157], v[72:73], a[184:187]// 000000007878: D3E180B8 0EE2919C
	buffer_atomic_add_f32 v137, v8, s[32:35], 0 offen          // 000000007880: E1341000 80088908
	v_mfma_f32_16x16x16_bf16 a[188:191], a[158:159], v[72:73], a[188:191]// 000000007888: D3E180BC 0EF2919E
	ds_read_b128 v[56:59], v17 offset:19712                    // 000000007890: D9FE4D00 38000011
	v_mfma_f32_16x16x16_bf16 a[192:195], a[144:145], v[74:75], a[192:195]// 000000007898: D3E180C0 0F029590
	v_mfma_f32_16x16x16_bf16 a[196:199], a[146:147], v[74:75], a[196:199]// 0000000078A0: D3E180C4 0F129592
	ds_read_b128 v[60:63], v17 offset:20864                    // 0000000078A8: D9FE5180 3C000011
	v_mfma_f32_16x16x16_bf16 a[200:203], a[148:149], v[74:75], a[200:203]// 0000000078B0: D3E180C8 0F229594
	v_mfma_f32_16x16x16_bf16 a[204:207], a[150:151], v[74:75], a[204:207]// 0000000078B8: D3E180CC 0F329596
	ds_read_b128 v[64:67], v17 offset:22016                    // 0000000078C0: D9FE5600 40000011
	v_mfma_f32_16x16x16_bf16 a[208:211], a[152:153], v[74:75], a[208:211]// 0000000078C8: D3E180D0 0F429598
	buffer_atomic_add_f32 v138, v7, s[32:35], 0 offen offset:128// 0000000078D0: E1341080 80088A07
	v_mfma_f32_16x16x16_bf16 a[212:215], a[154:155], v[74:75], a[212:215]// 0000000078D8: D3E180D4 0F52959A
	ds_read_b128 v[68:71], v17 offset:23168                    // 0000000078E0: D9FE5A80 44000011
	v_mfma_f32_16x16x16_bf16 a[216:219], a[156:157], v[74:75], a[216:219]// 0000000078E8: D3E180D8 0F62959C
	v_mfma_f32_16x16x16_bf16 a[220:223], a[158:159], v[74:75], a[220:223]// 0000000078F0: D3E180DC 0F72959E
	ds_write_b32 v13, v88 offset:13056                         // 0000000078F8: D81A3300 0000580D
	v_mfma_f32_16x16x16_bf16 a[224:227], a[144:145], v[76:77], a[224:227]// 000000007900: D3E180E0 0F829990
	v_mfma_f32_16x16x16_bf16 a[228:231], a[146:147], v[76:77], a[228:231]// 000000007908: D3E180E4 0F929992
	ds_write_b32 v13, v89 offset:14112                         // 000000007910: D81A3720 0000590D
	v_mfma_f32_16x16x16_bf16 a[232:235], a[148:149], v[76:77], a[232:235]// 000000007918: D3E180E8 0FA29994
	buffer_atomic_add_f32 v139, v8, s[32:35], 0 offen offset:128// 000000007920: E1341080 80088B08
	v_mfma_f32_16x16x16_bf16 a[236:239], a[150:151], v[76:77], a[236:239]// 000000007928: D3E180EC 0FB29996
	ds_write_b32 v13, v90 offset:13184                         // 000000007930: D81A3380 00005A0D
	v_mfma_f32_16x16x16_bf16 a[240:243], a[152:153], v[76:77], a[240:243]// 000000007938: D3E180F0 0FC29998
	v_mfma_f32_16x16x16_bf16 a[244:247], a[154:155], v[76:77], a[244:247]// 000000007940: D3E180F4 0FD2999A
	ds_write_b32 v13, v91 offset:14240                         // 000000007948: D81A37A0 00005B0D
	v_mfma_f32_16x16x16_bf16 a[248:251], a[156:157], v[76:77], a[248:251]// 000000007950: D3E180F8 0FE2999C
	v_mfma_f32_16x16x16_bf16 a[252:255], a[158:159], v[76:77], a[252:255]// 000000007958: D3E180FC 0FF2999E
	s_waitcnt vmcnt(8) lgkmcnt(4)                              // 000000007960: BF8C0478
	s_barrier                                                  // 000000007964: BF8A0000
	v_mfma_f32_16x16x16_bf16 v[128:131], v[48:49], a[48:49], 0 // 000000007968: D3E10080 12026130
	v_mul_f32_e32 v124, s48, v124                              // 000000007970: 0AF8F830
	s_nop 0                                                    // 000000007974: BF800000
	v_mfma_f32_16x16x16_bf16 v[128:131], v[50:51], a[52:53], v[128:131]// 000000007978: D3E10080 16026932
	ds_read_b128 a[144:147], v10                               // 000000007980: DBFE0000 9000000A
	buffer_load_dword v32, v1, s[8:11], 0 idxen                // 000000007988: E0502000 80022001
	v_mfma_f32_16x16x16_bf16 v[128:131], v[52:53], a[56:57], v[128:131]// 000000007990: D3E10080 16027134
	v_mfma_f32_16x16x16_bf16 v[128:131], v[54:55], a[60:61], v[128:131]// 000000007998: D3E10080 16027936
	ds_read_b128 a[148:151], v10 offset:512                    // 0000000079A0: DBFE0200 9400000A
	buffer_load_dword v33, v2, s[8:11], 0 idxen                // 0000000079A8: E0502000 80022102
	v_mfma_f32_16x16x16_bf16 v[128:131], v[56:57], a[64:65], v[128:131]// 0000000079B0: D3E10080 16028138
	v_perm_b32 v84, v37, v36, s63                              // 0000000079B8: D1ED0054 00FE4925
	v_perm_b32 v85, v37, v36, s64                              // 0000000079C0: D1ED0055 01024925
	v_mfma_f32_16x16x16_bf16 v[128:131], v[58:59], a[68:69], v[128:131]// 0000000079C8: D3E10080 1602893A
	ds_read_b128 a[152:155], v10 offset:2176                   // 0000000079D0: DBFE0880 9800000A
	buffer_load_dword v34, v3, s[8:11], 0 idxen                // 0000000079D8: E0502000 80022203
	v_mfma_f32_16x16x16_bf16 v[128:131], v[60:61], a[72:73], v[128:131]// 0000000079E0: D3E10080 1602913C
	v_perm_b32 v86, v39, v38, s63                              // 0000000079E8: D1ED0056 00FE4D27
	v_perm_b32 v87, v39, v38, s64                              // 0000000079F0: D1ED0057 01024D27
	v_mfma_f32_16x16x16_bf16 v[128:131], v[62:63], a[76:77], v[128:131]// 0000000079F8: D3E10080 1602993E
	ds_read_b128 a[156:159], v10 offset:2688                   // 000000007A00: DBFE0A80 9C00000A
	buffer_load_dword v35, v4, s[8:11], 0 idxen                // 000000007A08: E0502000 80022304
	v_mfma_f32_16x16x16_bf16 v[128:131], v[64:65], a[80:81], v[128:131]// 000000007A10: D3E10080 1602A140
	v_perm_b32 v88, v45, v44, s63                              // 000000007A18: D1ED0058 00FE592D
	v_perm_b32 v89, v45, v44, s64                              // 000000007A20: D1ED0059 0102592D
	v_mfma_f32_16x16x16_bf16 v[128:131], v[66:67], a[84:85], v[128:131]// 000000007A28: D3E10080 1602A942
	ds_read_b128 v[92:95], v10 offset:8704                     // 000000007A30: D9FE2200 5C00000A
	buffer_load_dword v40, v252, s[20:23], 0 idxen             // 000000007A38: E0502000 800528FC
	v_mfma_f32_16x16x16_bf16 v[128:131], v[68:69], a[88:89], v[128:131]// 000000007A40: D3E10080 1602B144
	v_perm_b32 v90, v47, v46, s63                              // 000000007A48: D1ED005A 00FE5D2F
	v_perm_b32 v91, v47, v46, s64                              // 000000007A50: D1ED005B 01025D2F
	v_mfma_f32_16x16x16_bf16 v[128:131], v[70:71], a[92:93], v[128:131]// 000000007A58: D3E10080 1602B946
	ds_read_b128 v[96:99], v10 offset:9216                     // 000000007A60: D9FE2400 6000000A
	buffer_load_dword v41, v253, s[20:23], 0 idxen             // 000000007A68: E0502000 800529FD
	v_mfma_f32_16x16x16_bf16 v[132:135], v[48:49], a[50:51], 0 // 000000007A70: D3E10084 12026530
	v_mov_b32_dpp v127, v124 quad_perm:[3,3,3,3] row_mask:0xf bank_mask:0xf// 000000007A78: 7EFE02FA FF00FF7C
	v_mov_b32_dpp v126, v124 quad_perm:[2,2,2,2] row_mask:0xf bank_mask:0xf// 000000007A80: 7EFC02FA FF00AA7C
	v_mfma_f32_16x16x16_bf16 v[132:135], v[50:51], a[54:55], v[132:135]// 000000007A88: D3E10084 16126D32
	ds_read_b128 v[100:103], v10 offset:10880                  // 000000007A90: D9FE2A80 6400000A
	buffer_load_dword v42, v254, s[20:23], 0 idxen             // 000000007A98: E0502000 80052AFE
	v_mfma_f32_16x16x16_bf16 v[132:135], v[52:53], a[58:59], v[132:135]// 000000007AA0: D3E10084 16127534
	v_mov_b32_dpp v125, v124 quad_perm:[1,1,1,1] row_mask:0xf bank_mask:0xf// 000000007AA8: 7EFA02FA FF00557C
	v_mov_b32_dpp v124, v124 quad_perm:[0,0,0,0] row_mask:0xf bank_mask:0xf// 000000007AB0: 7EF802FA FF00007C
	s_add_u32 s60, 64, s59                                     // 000000007AB8: 803C3BC0
	v_mfma_f32_16x16x16_bf16 v[132:135], v[54:55], a[62:63], v[132:135]// 000000007ABC: D3E10084 16127D36
	ds_read_b128 v[104:107], v10 offset:11392                  // 000000007AC4: D9FE2C80 6800000A
	buffer_load_dword v43, v255, s[20:23], 0 idxen             // 000000007ACC: E0502000 80052BFF
	v_mfma_f32_16x16x16_bf16 v[132:135], v[56:57], a[66:67], v[132:135]// 000000007AD4: D3E10084 16128538
	s_cmp_lt_u32 s60, s58                                      // 000000007ADC: BF0A3A3C
	s_cselect_b32 s68, s68, 0                                  // 000000007AE0: 85448044
	s_cselect_b32 s100, s100, 0                                // 000000007AE4: 85648064
	s_cselect_b32 s69, s69, 0                                  // 000000007AE8: 85458045
	v_mfma_f32_16x16x16_bf16 v[132:135], v[58:59], a[70:71], v[132:135]// 000000007AEC: D3E10084 16128D3A
	buffer_load_dword v9, s[24:27], 0 idxen lds                // 000000007AF4: E0512000 80060009
	v_mfma_f32_16x16x16_bf16 v[132:135], v[60:61], a[74:75], v[132:135]// 000000007AFC: D3E10084 1612953C
	v_add_u32_e32 v1, s68, v1                                  // 000000007B04: 68020244
	v_add_u32_e32 v2, s68, v2                                  // 000000007B08: 68040444
	v_add_u32_e32 v3, s68, v3                                  // 000000007B0C: 68060644
	v_add_u32_e32 v4, s68, v4                                  // 000000007B10: 68080844
	v_mfma_f32_16x16x16_bf16 v[132:135], v[62:63], a[78:79], v[132:135]// 000000007B14: D3E10084 16129D3E
	v_add_u32_e32 v252, s100, v252                             // 000000007B1C: 69F9F864
	v_add_u32_e32 v253, s100, v253                             // 000000007B20: 69FBFA64
	v_add_u32_e32 v254, s100, v254                             // 000000007B24: 69FDFC64
	v_add_u32_e32 v255, s100, v255                             // 000000007B28: 69FFFE64
	v_mfma_f32_16x16x16_bf16 v[132:135], v[64:65], a[82:83], v[132:135]// 000000007B2C: D3E10084 1612A540
	s_mov_b32 m0, s81                                          // 000000007B34: BEFC0051
	v_add_u32_e32 v9, s69, v9                                  // 000000007B38: 68121245
	v_mfma_f32_16x16x16_bf16 v[132:135], v[66:67], a[86:87], v[132:135]// 000000007B3C: D3E10084 1612AD42
	s_cmp_ge_u32 s59, s73                                      // 000000007B44: BF09493B
	s_cselect_b32 s66, s67, s66                                // 000000007B48: 85424243
	v_mfma_f32_16x16x16_bf16 v[132:135], v[68:69], a[90:91], v[132:135]// 000000007B4C: D3E10084 1612B544
	s_addk_i32 s59, 0x10                                       // 000000007B54: B73B0010
	s_nop 0                                                    // 000000007B58: BF800000
	s_cmp_lt_i32 s59, s58                                      // 000000007B5C: BF043A3B
	v_mfma_f32_16x16x16_bf16 v[132:135], v[70:71], a[94:95], v[132:135]// 000000007B60: D3E10084 1612BD46
	s_cbranch_scc0 label_0F66                                  // 000000007B68: BF840001
	s_branch label_089D                                        // 000000007B6C: BF82F941

0000000000007b70 <label_0F66>:
	s_nop 0                                                    // 000000007B70: BF800000
	s_nop 0                                                    // 000000007B74: BF800000
	s_branch label_1632                                        // 000000007B78: BF8206BF

0000000000007b7c <label_0F69>:
	s_waitcnt lgkmcnt(0)                                       // 000000007B7C: BF8CC07F
	s_barrier                                                  // 000000007B80: BF8A0000
	v_mfma_f32_16x16x16_bf16 v[48:51], a[144:145], a[0:1], 0   // 000000007B84: D3E10030 1A020190
	v_mul_f32_e32 v128, s47, v128                              // 000000007B8C: 0B01002F
	v_mul_f32_e32 v129, s47, v129                              // 000000007B90: 0B03022F
	v_mfma_f32_16x16x16_bf16 v[48:51], a[146:147], a[2:3], v[48:51]// 000000007B94: D3E10030 1CC20592
	ds_write_b32 v11, v44 offset:8704                          // 000000007B9C: D81A2200 00002C0B
	ds_write_b32 v11, v45 offset:9760                          // 000000007BA4: D81A2620 00002D0B
	v_mfma_f32_16x16x16_bf16 v[48:51], a[148:149], a[4:5], v[48:51]// 000000007BAC: D3E10030 1CC20994
	v_mul_f32_e32 v130, s47, v130                              // 000000007BB4: 0B05042F
	v_mul_f32_e32 v131, s47, v131                              // 000000007BB8: 0B07062F
	v_mfma_f32_16x16x16_bf16 v[48:51], a[150:151], a[6:7], v[48:51]// 000000007BBC: D3E10030 1CC20D96
	ds_write_b32 v11, v46 offset:8832                          // 000000007BC4: D81A2280 00002E0B
	ds_write_b32 v11, v47 offset:9888                          // 000000007BCC: D81A26A0 00002F0B
	v_mfma_f32_16x16x16_bf16 v[48:51], a[152:153], a[8:9], v[48:51]// 000000007BD4: D3E10030 1CC21198
	v_mul_f32_e32 v132, s47, v132                              // 000000007BDC: 0B09082F
	v_mul_f32_e32 v133, s47, v133                              // 000000007BE0: 0B0B0A2F
	v_mfma_f32_16x16x16_bf16 v[48:51], a[154:155], a[10:11], v[48:51]// 000000007BE4: D3E10030 1CC2159A
	ds_write_b64 v20, v[128:129] offset:24320                  // 000000007BEC: D89A5F00 00008014
	v_mfma_f32_16x16x16_bf16 v[48:51], a[156:157], a[12:13], v[48:51]// 000000007BF4: D3E10030 1CC2199C
	v_mul_f32_e32 v134, s47, v134                              // 000000007BFC: 0B0D0C2F
	v_mul_f32_e32 v135, s47, v135                              // 000000007C00: 0B0F0E2F
	v_mfma_f32_16x16x16_bf16 v[48:51], a[158:159], a[14:15], v[48:51]// 000000007C04: D3E10030 1CC21D9E
	ds_write_b64 v20, v[130:131] offset:24832                  // 000000007C0C: D89A6100 00008214
	v_mfma_f32_16x16x16_bf16 v[52:55], a[144:145], a[16:17], 0 // 000000007C14: D3E10034 1A022190
	buffer_atomic_add_f32 v140, v7, s[32:35], 0 offen offset:256// 000000007C1C: E1341100 80088C07
	v_mfma_f32_16x16x16_bf16 v[52:55], a[146:147], a[18:19], v[52:55]// 000000007C24: D3E10034 1CD22592
	ds_write_b64 v20, v[132:133] offset:25344                  // 000000007C2C: D89A6300 00008414
	v_mfma_f32_16x16x16_bf16 v[52:55], a[148:149], a[20:21], v[52:55]// 000000007C34: D3E10034 1CD22994
	v_mfma_f32_16x16x16_bf16 v[52:55], a[150:151], a[22:23], v[52:55]// 000000007C3C: D3E10034 1CD22D96
	ds_write_b64 v20, v[134:135] offset:25856                  // 000000007C44: D89A6500 00008614
	v_mfma_f32_16x16x16_bf16 v[52:55], a[152:153], a[24:25], v[52:55]// 000000007C4C: D3E10034 1CD23198
	buffer_atomic_add_f32 v141, v8, s[32:35], 0 offen offset:256// 000000007C54: E1341100 80088D08
	v_mfma_f32_16x16x16_bf16 v[52:55], a[154:155], a[26:27], v[52:55]// 000000007C5C: D3E10034 1CD2359A
	ds_read_b128 v[108:111], v12 offset:13056                  // 000000007C64: D9FE3300 6C00000C
	ds_write_b32 v11, v36                                      // 000000007C6C: D81A0000 0000240B
	v_mfma_f32_16x16x16_bf16 v[52:55], a[156:157], a[28:29], v[52:55]// 000000007C74: D3E10034 1CD2399C
	v_mfma_f32_16x16x16_bf16 v[52:55], a[158:159], a[30:31], v[52:55]// 000000007C7C: D3E10034 1CD23D9E
	v_mfma_f32_16x16x16_bf16 v[56:59], a[144:145], a[32:33], 0 // 000000007C84: D3E10038 1A024190
	ds_read_b128 v[112:115], v12 offset:13568                  // 000000007C8C: D9FE3500 7000000C
	ds_write_b32 v11, v37 offset:1056                          // 000000007C94: D81A0420 0000250B
	v_mfma_f32_16x16x16_bf16 v[56:59], a[146:147], a[34:35], v[56:59]// 000000007C9C: D3E10038 1CE24592
	buffer_atomic_add_f32 v142, v7, s[32:35], 0 offen offset:384// 000000007CA4: E1341180 80088E07
	v_mfma_f32_16x16x16_bf16 v[56:59], a[148:149], a[36:37], v[56:59]// 000000007CAC: D3E10038 1CE24994
	v_mfma_f32_16x16x16_bf16 v[56:59], a[150:151], a[38:39], v[56:59]// 000000007CB4: D3E10038 1CE24D96
	ds_read_b128 v[116:119], v12 offset:15232                  // 000000007CBC: D9FE3B80 7400000C
	ds_write_b32 v11, v38 offset:128                           // 000000007CC4: D81A0080 0000260B
	v_mfma_f32_16x16x16_bf16 v[56:59], a[152:153], a[40:41], v[56:59]// 000000007CCC: D3E10038 1CE25198
	v_mfma_f32_16x16x16_bf16 v[56:59], a[154:155], a[42:43], v[56:59]// 000000007CD4: D3E10038 1CE2559A
	buffer_atomic_add_f32 v143, v8, s[32:35], 0 offen offset:384// 000000007CDC: E1341180 80088F08
	v_mfma_f32_16x16x16_bf16 v[56:59], a[156:157], a[44:45], v[56:59]// 000000007CE4: D3E10038 1CE2599C
	ds_read_b128 v[120:123], v12 offset:15744                  // 000000007CEC: D9FE3D80 7800000C
	ds_write_b32 v11, v39 offset:1184                          // 000000007CF4: D81A04A0 0000270B
	v_mfma_f32_16x16x16_bf16 v[56:59], a[158:159], a[46:47], v[56:59]// 000000007CFC: D3E10038 1CE25D9E
	s_cmp_eq_i32 s88, 0                                        // 000000007D04: BF008058
	s_cbranch_scc1 label_1061                                  // 000000007D08: BF85008F
	s_cmp_lt_i32 s74, 12                                       // 000000007D0C: BF048C4A
	s_cbranch_scc0 label_100C                                  // 000000007D10: BF84003D
	s_lshl_b32 s60, s74, 4                                     // 000000007D14: 8E3C844A
	v_sub_i32 v28, v25, s60                                    // 000000007D18: D29D001C 00007919
	s_mov_b32 s61, 0                                           // 000000007D20: BEBD0080
	v_add_i32 v29, v28, s61                                    // 000000007D24: D29C001D 00007B1C
	v_cmp_gt_i32_e64 s[60:61], v29, 0                          // 000000007D2C: D0C4003C 0001011D
	v_cmp_gt_i32_e64 s[70:71], v29, 1                          // 000000007D34: D0C40046 0001031D
	v_cndmask_b32_e64 v48, v48, v151, s[60:61]                 // 000000007D3C: D1000030 00F32F30
	v_cndmask_b32_e64 v49, v49, v151, s[70:71]                 // 000000007D44: D1000031 011B2F31
	v_cmp_gt_i32_e64 s[60:61], v29, 2                          // 000000007D4C: D0C4003C 0001051D
	v_cmp_gt_i32_e64 s[70:71], v29, 3                          // 000000007D54: D0C40046 0001071D
	v_cndmask_b32_e64 v50, v50, v151, s[60:61]                 // 000000007D5C: D1000032 00F32F32
	v_cndmask_b32_e64 v51, v51, v151, s[70:71]                 // 000000007D64: D1000033 011B2F33
	s_mov_b32 s61, 64                                          // 000000007D6C: BEBD00C0
	v_add_i32 v29, v28, s61                                    // 000000007D70: D29C001D 00007B1C
	v_cmp_gt_i32_e64 s[60:61], v29, 0                          // 000000007D78: D0C4003C 0001011D
	v_cmp_gt_i32_e64 s[70:71], v29, 1                          // 000000007D80: D0C40046 0001031D
	v_cndmask_b32_e64 v52, v52, v151, s[60:61]                 // 000000007D88: D1000034 00F32F34
	v_cndmask_b32_e64 v53, v53, v151, s[70:71]                 // 000000007D90: D1000035 011B2F35
	v_cmp_gt_i32_e64 s[60:61], v29, 2                          // 000000007D98: D0C4003C 0001051D
	v_cmp_gt_i32_e64 s[70:71], v29, 3                          // 000000007DA0: D0C40046 0001071D
	v_cndmask_b32_e64 v54, v54, v151, s[60:61]                 // 000000007DA8: D1000036 00F32F36
	v_cndmask_b32_e64 v55, v55, v151, s[70:71]                 // 000000007DB0: D1000037 011B2F37
	s_mov_b32 s61, 0x80                                        // 000000007DB8: BEBD00FF 00000080
	v_add_i32 v29, v28, s61                                    // 000000007DC0: D29C001D 00007B1C
	v_cmp_gt_i32_e64 s[60:61], v29, 0                          // 000000007DC8: D0C4003C 0001011D
	v_cmp_gt_i32_e64 s[70:71], v29, 1                          // 000000007DD0: D0C40046 0001031D
	v_cndmask_b32_e64 v56, v56, v151, s[60:61]                 // 000000007DD8: D1000038 00F32F38
	v_cndmask_b32_e64 v57, v57, v151, s[70:71]                 // 000000007DE0: D1000039 011B2F39
	v_cmp_gt_i32_e64 s[60:61], v29, 2                          // 000000007DE8: D0C4003C 0001051D
	v_cmp_gt_i32_e64 s[70:71], v29, 3                          // 000000007DF0: D0C40046 0001071D
	v_cndmask_b32_e64 v58, v58, v151, s[60:61]                 // 000000007DF8: D100003A 00F32F3A
	v_cndmask_b32_e64 v59, v59, v151, s[70:71]                 // 000000007E00: D100003B 011B2F3B

0000000000007e08 <label_100C>:
	s_cmp_lt_i32 s84, 0xc0                                     // 000000007E08: BF04FF54 000000C0
	s_cbranch_scc0 label_1061                                  // 000000007E10: BF84004D
	s_cmp_le_i32 s84, 64                                       // 000000007E14: BF05C054
	s_cbranch_scc1 label_1018                                  // 000000007E18: BF850007
	s_cmp_le_i32 s84, 0x80                                     // 000000007E1C: BF05FF54 00000080
	s_cbranch_scc1 label_1030                                  // 000000007E24: BF850017
	s_cmp_lt_i32 s84, 0xc0                                     // 000000007E28: BF04FF54 000000C0
	s_cbranch_scc1 label_1048                                  // 000000007E30: BF85002C
	s_branch label_1061                                        // 000000007E34: BF820044

0000000000007e38 <label_1018>:
	s_mov_b32 s60, 0                                           // 000000007E38: BEBC0080
	v_and_b32_e32 v28, 15, v0                                  // 000000007E3C: 2638008F
	v_add_u32_e64 v28, v28, s60                                // 000000007E40: D134001C 0000791C
	v_mul_i32_i24_e64 v29, s46, 16                             // 000000007E48: D106001D 0001202E
	v_add_u32_e32 v28, v28, v29                                // 000000007E50: 68383B1C
	v_cmp_lt_u32_e64 s[60:61], v28, s84                        // 000000007E54: D0C9003C 0000A91C
	s_nop 1                                                    // 000000007E5C: BF800001
	v_cndmask_b32_e64 v48, v151, v48, s[60:61]                 // 000000007E60: D1000030 00F26197
	v_cndmask_b32_e64 v49, v151, v49, s[60:61]                 // 000000007E68: D1000031 00F26397
	v_cndmask_b32_e64 v50, v151, v50, s[60:61]                 // 000000007E70: D1000032 00F26597
	v_cndmask_b32_e64 v51, v151, v51, s[60:61]                 // 000000007E78: D1000033 00F26797
	s_branch label_1043                                        // 000000007E80: BF820013

0000000000007e84 <label_1030>:
	s_mov_b32 s60, 64                                          // 000000007E84: BEBC00C0
	v_and_b32_e32 v28, 15, v0                                  // 000000007E88: 2638008F
	v_add_u32_e64 v28, v28, s60                                // 000000007E8C: D134001C 0000791C
	v_mul_i32_i24_e64 v29, s46, 16                             // 000000007E94: D106001D 0001202E
	v_add_u32_e32 v28, v28, v29                                // 000000007E9C: 68383B1C
	v_cmp_lt_u32_e64 s[60:61], v28, s84                        // 000000007EA0: D0C9003C 0000A91C
	s_nop 1                                                    // 000000007EA8: BF800001
	v_cndmask_b32_e64 v52, v151, v52, s[60:61]                 // 000000007EAC: D1000034 00F26997
	v_cndmask_b32_e64 v53, v151, v53, s[60:61]                 // 000000007EB4: D1000035 00F26B97
	v_cndmask_b32_e64 v54, v151, v54, s[60:61]                 // 000000007EBC: D1000036 00F26D97
	v_cndmask_b32_e64 v55, v151, v55, s[60:61]                 // 000000007EC4: D1000037 00F26F97
	s_branch label_105C                                        // 000000007ECC: BF820019

0000000000007ed0 <label_1043>:
	v_mov_b32_e32 v52, v151                                    // 000000007ED0: 7E680397
	v_mov_b32_e32 v53, v151                                    // 000000007ED4: 7E6A0397
	v_mov_b32_e32 v54, v151                                    // 000000007ED8: 7E6C0397
	v_mov_b32_e32 v55, v151                                    // 000000007EDC: 7E6E0397
	s_branch label_105C                                        // 000000007EE0: BF820014

0000000000007ee4 <label_1048>:
	s_mov_b32 s60, 0x80                                        // 000000007EE4: BEBC00FF 00000080
	v_and_b32_e32 v28, 15, v0                                  // 000000007EEC: 2638008F
	v_add_u32_e64 v28, v28, s60                                // 000000007EF0: D134001C 0000791C
	v_mul_i32_i24_e64 v29, s46, 16                             // 000000007EF8: D106001D 0001202E
	v_add_u32_e32 v28, v28, v29                                // 000000007F00: 68383B1C
	v_cmp_lt_u32_e64 s[60:61], v28, s84                        // 000000007F04: D0C9003C 0000A91C
	s_nop 1                                                    // 000000007F0C: BF800001
	v_cndmask_b32_e64 v56, v151, v56, s[60:61]                 // 000000007F10: D1000038 00F27197
	v_cndmask_b32_e64 v57, v151, v57, s[60:61]                 // 000000007F18: D1000039 00F27397
	v_cndmask_b32_e64 v58, v151, v58, s[60:61]                 // 000000007F20: D100003A 00F27597
	v_cndmask_b32_e64 v59, v151, v59, s[60:61]                 // 000000007F28: D100003B 00F27797
	s_branch label_1061                                        // 000000007F30: BF820005

0000000000007f34 <label_105C>:
	v_mov_b32_e32 v56, v151                                    // 000000007F34: 7E700397
	v_mov_b32_e32 v57, v151                                    // 000000007F38: 7E720397
	v_mov_b32_e32 v58, v151                                    // 000000007F3C: 7E740397
	v_mov_b32_e32 v59, v151                                    // 000000007F40: 7E760397
	s_branch label_1061                                        // 000000007F44: BF820000

0000000000007f48 <label_1061>:
	s_addk_i32 s74, 0x1                                        // 000000007F48: B74A0001
	s_waitcnt lgkmcnt(8)                                       // 000000007F4C: BF8CC87F
	s_barrier                                                  // 000000007F50: BF8A0000
	v_mfma_f32_16x16x16_bf16 v[72:75], v[92:93], a[96:97], 0   // 000000007F54: D3E10048 1202C15C
	v_fma_f32 v48, v48, s57, -v124                             // 000000007F5C: D1CB0030 85F07330
	v_fma_f32 v49, v49, s57, -v125                             // 000000007F64: D1CB0031 85F47331
	v_fma_f32 v50, v50, s57, -v126                             // 000000007F6C: D1CB0032 85F87332
	v_mfma_f32_16x16x16_bf16 v[72:75], v[94:95], a[98:99], v[72:75]// 000000007F74: D3E10048 1522C55E
	ds_read_b128 a[144:147], v12 offset:4352                   // 000000007F7C: DBFE1100 9000000C
	ds_read_b128 a[148:151], v12 offset:4864                   // 000000007F84: DBFE1300 9400000C
	v_mfma_f32_16x16x16_bf16 v[72:75], v[96:97], a[100:101], v[72:75]// 000000007F8C: D3E10048 1522C960
	v_fma_f32 v51, v51, s57, -v127                             // 000000007F94: D1CB0033 85FC7333
	v_fma_f32 v52, v52, s57, -v124                             // 000000007F9C: D1CB0034 85F07334
	v_fma_f32 v53, v53, s57, -v125                             // 000000007FA4: D1CB0035 85F47335
	v_mfma_f32_16x16x16_bf16 v[72:75], v[98:99], a[102:103], v[72:75]// 000000007FAC: D3E10048 1522CD62
	v_fma_f32 v54, v54, s57, -v126                             // 000000007FB4: D1CB0036 85F87336
	v_fma_f32 v55, v55, s57, -v127                             // 000000007FBC: D1CB0037 85FC7337
	v_fma_f32 v56, v56, s57, -v124                             // 000000007FC4: D1CB0038 85F07338
	v_mfma_f32_16x16x16_bf16 v[72:75], v[100:101], a[104:105], v[72:75]// 000000007FCC: D3E10048 1522D164
	v_fma_f32 v57, v57, s57, -v125                             // 000000007FD4: D1CB0039 85F47339
	v_fma_f32 v58, v58, s57, -v126                             // 000000007FDC: D1CB003A 85F8733A
	v_fma_f32 v59, v59, s57, -v127                             // 000000007FE4: D1CB003B 85FC733B
	v_mfma_f32_16x16x16_bf16 v[72:75], v[102:103], a[106:107], v[72:75]// 000000007FEC: D3E10048 1522D566
	ds_read_b128 a[152:155], v12 offset:6528                   // 000000007FF4: DBFE1980 9800000C
	ds_read_b128 a[156:159], v12 offset:7040                   // 000000007FFC: DBFE1B80 9C00000C
	v_mfma_f32_16x16x16_bf16 v[72:75], v[104:105], a[108:109], v[72:75]// 000000008004: D3E10048 1522D968
	v_exp_f32_e32 v48, v48                                     // 00000000800C: 7E604130
	v_mfma_f32_16x16x16_bf16 v[72:75], v[106:107], a[110:111], v[72:75]// 000000008010: D3E10048 1522DD6A
	v_exp_f32_e32 v49, v49                                     // 000000008018: 7E624131
	v_mfma_f32_16x16x16_bf16 v[76:79], v[92:93], a[112:113], 0 // 00000000801C: D3E1004C 1202E15C
	v_exp_f32_e32 v50, v50                                     // 000000008024: 7E644132
	v_mfma_f32_16x16x16_bf16 v[76:79], v[94:95], a[114:115], v[76:79]// 000000008028: D3E1004C 1532E55E
	ds_read_b64 v[136:137], v19 offset:24320                   // 000000008030: D8EC5F00 88000013
	ds_read_b64 v[138:139], v19 offset:26368                   // 000000008038: D8EC6700 8A000013
	v_mfma_f32_16x16x16_bf16 v[76:79], v[96:97], a[116:117], v[76:79]// 000000008040: D3E1004C 1532E960
	v_exp_f32_e32 v51, v51                                     // 000000008048: 7E664133
	v_mfma_f32_16x16x16_bf16 v[76:79], v[98:99], a[118:119], v[76:79]// 00000000804C: D3E1004C 1532ED62
	ds_read_b64 v[140:141], v19 offset:28416                   // 000000008054: D8EC6F00 8C000013
	ds_read_b64 v[142:143], v19 offset:30464                   // 00000000805C: D8EC7700 8E000013
	v_mfma_f32_16x16x16_bf16 v[76:79], v[100:101], a[120:121], v[76:79]// 000000008064: D3E1004C 1532F164
	v_exp_f32_e32 v52, v52                                     // 00000000806C: 7E684134
	v_mfma_f32_16x16x16_bf16 v[76:79], v[102:103], a[122:123], v[76:79]// 000000008070: D3E1004C 1532F566
	v_exp_f32_e32 v53, v53                                     // 000000008078: 7E6A4135
	v_mfma_f32_16x16x16_bf16 v[76:79], v[104:105], a[124:125], v[76:79]// 00000000807C: D3E1004C 1532F968
	v_exp_f32_e32 v54, v54                                     // 000000008084: 7E6C4136
	v_mfma_f32_16x16x16_bf16 v[76:79], v[106:107], a[126:127], v[76:79]// 000000008088: D3E1004C 1532FD6A
	v_exp_f32_e32 v55, v55                                     // 000000008090: 7E6E4137
	v_mfma_f32_16x16x16_bf16 v[80:83], v[92:93], a[128:129], 0 // 000000008094: D3E10050 1203015C
	v_exp_f32_e32 v56, v56                                     // 00000000809C: 7E704138
	v_mfma_f32_16x16x16_bf16 v[80:83], v[94:95], a[130:131], v[80:83]// 0000000080A0: D3E10050 1543055E
	v_exp_f32_e32 v57, v57                                     // 0000000080A8: 7E724139
	v_mfma_f32_16x16x16_bf16 v[80:83], v[96:97], a[132:133], v[80:83]// 0000000080AC: D3E10050 15430960
	v_exp_f32_e32 v58, v58                                     // 0000000080B4: 7E74413A
	v_mfma_f32_16x16x16_bf16 v[80:83], v[98:99], a[134:135], v[80:83]// 0000000080B8: D3E10050 15430D62
	v_exp_f32_e32 v59, v59                                     // 0000000080C0: 7E76413B
	v_mfma_f32_16x16x16_bf16 v[80:83], v[100:101], a[136:137], v[80:83]// 0000000080C4: D3E10050 15431164
	v_cmp_u_f32_e64 s[78:79], v48, v48                         // 0000000080CC: D048004E 00026130
	v_add3_u32 v248, v48, v251, 1                              // 0000000080D4: D1FF00F8 0207F730
	v_cndmask_b32_e64 v28, v248, v250, s[78:79]                // 0000000080DC: D100001C 013BF5F8
	v_cmp_u_f32_e64 s[78:79], v49, v49                         // 0000000080E4: D048004E 00026331
	v_add3_u32 v248, v49, v251, 1                              // 0000000080EC: D1FF00F8 0207F731
	v_cndmask_b32_e64 v29, v248, v250, s[78:79]                // 0000000080F4: D100001D 013BF5F8
	v_perm_b32 v144, v29, v28, s64                             // 0000000080FC: D1ED0090 0102391D
	v_cmp_u_f32_e64 s[78:79], v50, v50                         // 000000008104: D048004E 00026532
	v_add3_u32 v248, v50, v251, 1                              // 00000000810C: D1FF00F8 0207F732
	v_cndmask_b32_e64 v28, v248, v250, s[78:79]                // 000000008114: D100001C 013BF5F8
	v_cmp_u_f32_e64 s[78:79], v51, v51                         // 00000000811C: D048004E 00026733
	v_add3_u32 v248, v51, v251, 1                              // 000000008124: D1FF00F8 0207F733
	v_cndmask_b32_e64 v29, v248, v250, s[78:79]                // 00000000812C: D100001D 013BF5F8
	v_perm_b32 v145, v29, v28, s64                             // 000000008134: D1ED0091 0102391D
	v_cmp_u_f32_e64 s[78:79], v52, v52                         // 00000000813C: D048004E 00026934
	v_add3_u32 v248, v52, v251, 1                              // 000000008144: D1FF00F8 0207F734
	v_cndmask_b32_e64 v28, v248, v250, s[78:79]                // 00000000814C: D100001C 013BF5F8
	v_cmp_u_f32_e64 s[78:79], v53, v53                         // 000000008154: D048004E 00026B35
	v_add3_u32 v248, v53, v251, 1                              // 00000000815C: D1FF00F8 0207F735
	v_cndmask_b32_e64 v29, v248, v250, s[78:79]                // 000000008164: D100001D 013BF5F8
	v_perm_b32 v146, v29, v28, s64                             // 00000000816C: D1ED0092 0102391D
	v_mfma_f32_16x16x16_bf16 v[80:83], v[102:103], a[138:139], v[80:83]// 000000008174: D3E10050 15431566
	v_cmp_u_f32_e64 s[78:79], v54, v54                         // 00000000817C: D048004E 00026D36
	v_add3_u32 v248, v54, v251, 1                              // 000000008184: D1FF00F8 0207F736
	v_cndmask_b32_e64 v28, v248, v250, s[78:79]                // 00000000818C: D100001C 013BF5F8
	v_cmp_u_f32_e64 s[78:79], v55, v55                         // 000000008194: D048004E 00026F37
	v_add3_u32 v248, v55, v251, 1                              // 00000000819C: D1FF00F8 0207F737
	v_cndmask_b32_e64 v29, v248, v250, s[78:79]                // 0000000081A4: D100001D 013BF5F8
	v_perm_b32 v147, v29, v28, s64                             // 0000000081AC: D1ED0093 0102391D
	v_cmp_u_f32_e64 s[78:79], v56, v56                         // 0000000081B4: D048004E 00027138
	v_add3_u32 v248, v56, v251, 1                              // 0000000081BC: D1FF00F8 0207F738
	v_cndmask_b32_e64 v28, v248, v250, s[78:79]                // 0000000081C4: D100001C 013BF5F8
	v_cmp_u_f32_e64 s[78:79], v57, v57                         // 0000000081CC: D048004E 00027339
	v_add3_u32 v248, v57, v251, 1                              // 0000000081D4: D1FF00F8 0207F739
	v_cndmask_b32_e64 v29, v248, v250, s[78:79]                // 0000000081DC: D100001D 013BF5F8
	v_perm_b32 v148, v29, v28, s64                             // 0000000081E4: D1ED0094 0102391D
	v_cmp_u_f32_e64 s[78:79], v58, v58                         // 0000000081EC: D048004E 0002753A
	v_add3_u32 v248, v58, v251, 1                              // 0000000081F4: D1FF00F8 0207F73A
	v_cndmask_b32_e64 v28, v248, v250, s[78:79]                // 0000000081FC: D100001C 013BF5F8
	v_cmp_u_f32_e64 s[78:79], v59, v59                         // 000000008204: D048004E 0002773B
	v_add3_u32 v248, v59, v251, 1                              // 00000000820C: D1FF00F8 0207F73B
	v_cndmask_b32_e64 v29, v248, v250, s[78:79]                // 000000008214: D100001D 013BF5F8
	v_perm_b32 v149, v29, v28, s64                             // 00000000821C: D1ED0095 0102391D
	v_mfma_f32_16x16x16_bf16 v[80:83], v[104:105], a[140:141], v[80:83]// 000000008224: D3E10050 15431968
	v_add_u32_e32 v7, s66, v7                                  // 00000000822C: 680E0E42
	v_add_u32_e32 v8, s66, v8                                  // 000000008230: 68101042
	v_mfma_f32_16x16x16_bf16 v[80:83], v[106:107], a[142:143], v[80:83]// 000000008234: D3E10050 15431D6A
	s_waitcnt lgkmcnt(0)                                       // 00000000823C: BF8CC07F
	s_barrier                                                  // 000000008240: BF8A0000
	v_mfma_f32_16x16x16_bf16 v[152:155], v[108:109], v[144:145], v[152:155]// 000000008244: D3E10098 0663216C
	v_subrev_f32_dpp v72, v150, v72 quad_perm:[0,0,0,0] row_mask:0xf bank_mask:0xf// 00000000824C: 069090FA FF000096
	v_subrev_f32_dpp v73, v150, v73 quad_perm:[1,1,1,1] row_mask:0xf bank_mask:0xf// 000000008254: 069292FA FF005596
	v_subrev_f32_dpp v74, v150, v74 quad_perm:[2,2,2,2] row_mask:0xf bank_mask:0xf// 00000000825C: 069494FA FF00AA96
	v_mfma_f32_16x16x16_bf16 v[156:159], v[110:111], v[144:145], v[156:159]// 000000008264: D3E1009C 0673216E
	v_subrev_f32_dpp v75, v150, v75 quad_perm:[3,3,3,3] row_mask:0xf bank_mask:0xf// 00000000826C: 069696FA FF00FF96
	v_subrev_f32_dpp v76, v150, v76 quad_perm:[0,0,0,0] row_mask:0xf bank_mask:0xf// 000000008274: 069898FA FF000096
	v_subrev_f32_dpp v77, v150, v77 quad_perm:[1,1,1,1] row_mask:0xf bank_mask:0xf// 00000000827C: 069A9AFA FF005596
	v_mfma_f32_16x16x16_bf16 v[160:163], v[112:113], v[144:145], v[160:163]// 000000008284: D3E100A0 06832170
	v_mul_f32_e32 v72, v48, v72                                // 00000000828C: 0A909130
	v_mul_f32_e32 v73, v49, v73                                // 000000008290: 0A929331
	v_mul_f32_e32 v74, v50, v74                                // 000000008294: 0A949532
	v_mfma_f32_16x16x16_bf16 v[164:167], v[114:115], v[144:145], v[164:167]// 000000008298: D3E100A4 06932172
	v_mul_f32_e32 v75, v51, v75                                // 0000000082A0: 0A969733
	v_mul_f32_e32 v76, v52, v76                                // 0000000082A4: 0A989934
	v_mul_f32_e32 v77, v53, v77                                // 0000000082A8: 0A9A9B35
	v_mfma_f32_16x16x16_bf16 v[168:171], v[116:117], v[144:145], v[168:171]// 0000000082AC: D3E100A8 06A32174
	v_cmp_u_f32_e64 s[78:79], v72, v72                         // 0000000082B4: D048004E 00029148
	v_add3_u32 v248, v72, v251, 1                              // 0000000082BC: D1FF00F8 0207F748
	v_cndmask_b32_e64 v28, v248, v250, s[78:79]                // 0000000082C4: D100001C 013BF5F8
	v_cmp_u_f32_e64 s[78:79], v73, v73                         // 0000000082CC: D048004E 00029349
	v_add3_u32 v248, v73, v251, 1                              // 0000000082D4: D1FF00F8 0207F749
	v_cndmask_b32_e64 v29, v248, v250, s[78:79]                // 0000000082DC: D100001D 013BF5F8
	v_perm_b32 v72, v29, v28, s64                              // 0000000082E4: D1ED0048 0102391D
	v_cmp_u_f32_e64 s[78:79], v74, v74                         // 0000000082EC: D048004E 0002954A
	v_add3_u32 v248, v74, v251, 1                              // 0000000082F4: D1FF00F8 0207F74A
	v_cndmask_b32_e64 v28, v248, v250, s[78:79]                // 0000000082FC: D100001C 013BF5F8
	v_cmp_u_f32_e64 s[78:79], v75, v75                         // 000000008304: D048004E 0002974B
	v_add3_u32 v248, v75, v251, 1                              // 00000000830C: D1FF00F8 0207F74B
	v_cndmask_b32_e64 v29, v248, v250, s[78:79]                // 000000008314: D100001D 013BF5F8
	v_perm_b32 v73, v29, v28, s64                              // 00000000831C: D1ED0049 0102391D
	v_cmp_u_f32_e64 s[78:79], v76, v76                         // 000000008324: D048004E 0002994C
	v_add3_u32 v248, v76, v251, 1                              // 00000000832C: D1FF00F8 0207F74C
	v_cndmask_b32_e64 v28, v248, v250, s[78:79]                // 000000008334: D100001C 013BF5F8
	v_cmp_u_f32_e64 s[78:79], v77, v77                         // 00000000833C: D048004E 00029B4D
	v_add3_u32 v248, v77, v251, 1                              // 000000008344: D1FF00F8 0207F74D
	v_cndmask_b32_e64 v29, v248, v250, s[78:79]                // 00000000834C: D100001D 013BF5F8
	v_perm_b32 v74, v29, v28, s64                              // 000000008354: D1ED004A 0102391D
	v_mfma_f32_16x16x16_bf16 v[172:175], v[118:119], v[144:145], v[172:175]// 00000000835C: D3E100AC 06B32176
	v_mov_b32_dpp v16, v72 quad_perm:[1,0,3,2] row_mask:0xf bank_mask:0xf// 000000008364: 7E2002FA FF00B148
	v_perm_b32 v48, v16, v72, v15                              // 00000000836C: D1ED0030 043E9110
	v_mov_b32_dpp v16, v73 quad_perm:[1,0,3,2] row_mask:0xf bank_mask:0xf// 000000008374: 7E2002FA FF00B149
	v_mfma_f32_16x16x16_bf16 v[176:179], v[120:121], v[144:145], v[176:179]// 00000000837C: D3E100B0 06C32178
	ds_write_b32 v18, v48 offset:17408                         // 000000008384: D81A4400 00003012
	v_mfma_f32_16x16x16_bf16 v[180:183], v[122:123], v[144:145], v[180:183]// 00000000838C: D3E100B4 06D3217A
	v_perm_b32 v49, v16, v73, v15                              // 000000008394: D1ED0031 043E9310
	v_mov_b32_dpp v16, v74 quad_perm:[1,0,3,2] row_mask:0xf bank_mask:0xf// 00000000839C: 7E2002FA FF00B14A
	v_perm_b32 v50, v16, v74, v15                              // 0000000083A4: D1ED0032 043E9510
	v_mfma_f32_16x16x16_bf16 v[184:187], v[108:109], v[146:147], v[184:187]// 0000000083AC: D3E100B8 06E3256C
	ds_write_b32 v18, v49 offset:17952                         // 0000000083B4: D81A4620 00003112
	v_mfma_f32_16x16x16_bf16 v[188:191], v[110:111], v[146:147], v[188:191]// 0000000083BC: D3E100BC 06F3256E
	v_subrev_f32_dpp v78, v150, v78 quad_perm:[2,2,2,2] row_mask:0xf bank_mask:0xf// 0000000083C4: 069C9CFA FF00AA96
	v_subrev_f32_dpp v79, v150, v79 quad_perm:[3,3,3,3] row_mask:0xf bank_mask:0xf// 0000000083CC: 069E9EFA FF00FF96
	v_subrev_f32_dpp v80, v150, v80 quad_perm:[0,0,0,0] row_mask:0xf bank_mask:0xf// 0000000083D4: 06A0A0FA FF000096
	v_mfma_f32_16x16x16_bf16 v[192:195], v[112:113], v[146:147], v[192:195]// 0000000083DC: D3E100C0 07032570
	ds_write_b32 v18, v50 offset:19712                         // 0000000083E4: D81A4D00 00003212
	v_mfma_f32_16x16x16_bf16 v[196:199], v[114:115], v[146:147], v[196:199]// 0000000083EC: D3E100C4 07132572
	v_subrev_f32_dpp v81, v150, v81 quad_perm:[1,1,1,1] row_mask:0xf bank_mask:0xf// 0000000083F4: 06A2A2FA FF005596
	v_subrev_f32_dpp v82, v150, v82 quad_perm:[2,2,2,2] row_mask:0xf bank_mask:0xf// 0000000083FC: 06A4A4FA FF00AA96
	v_subrev_f32_dpp v83, v150, v83 quad_perm:[3,3,3,3] row_mask:0xf bank_mask:0xf// 000000008404: 06A6A6FA FF00FF96
	v_mfma_f32_16x16x16_bf16 v[200:203], v[116:117], v[146:147], v[200:203]// 00000000840C: D3E100C8 07232574
	v_mul_f32_e32 v78, v54, v78                                // 000000008414: 0A9C9D36
	v_mul_f32_e32 v79, v55, v79                                // 000000008418: 0A9E9F37
	v_mul_f32_e32 v80, v56, v80                                // 00000000841C: 0AA0A138
	v_mfma_f32_16x16x16_bf16 v[204:207], v[118:119], v[146:147], v[204:207]// 000000008420: D3E100CC 07332576
	v_mul_f32_e32 v81, v57, v81                                // 000000008428: 0AA2A339
	v_mul_f32_e32 v82, v58, v82                                // 00000000842C: 0AA4A53A
	v_mul_f32_e32 v83, v59, v83                                // 000000008430: 0AA6A73B
	v_mfma_f32_16x16x16_bf16 v[208:211], v[120:121], v[146:147], v[208:211]// 000000008434: D3E100D0 07432578
	v_cmp_u_f32_e64 s[78:79], v78, v78                         // 00000000843C: D048004E 00029D4E
	v_add3_u32 v248, v78, v251, 1                              // 000000008444: D1FF00F8 0207F74E
	v_cndmask_b32_e64 v28, v248, v250, s[78:79]                // 00000000844C: D100001C 013BF5F8
	v_cmp_u_f32_e64 s[78:79], v79, v79                         // 000000008454: D048004E 00029F4F
	v_add3_u32 v248, v79, v251, 1                              // 00000000845C: D1FF00F8 0207F74F
	v_cndmask_b32_e64 v29, v248, v250, s[78:79]                // 000000008464: D100001D 013BF5F8
	v_perm_b32 v75, v29, v28, s64                              // 00000000846C: D1ED004B 0102391D
	v_cmp_u_f32_e64 s[78:79], v80, v80                         // 000000008474: D048004E 0002A150
	v_add3_u32 v248, v80, v251, 1                              // 00000000847C: D1FF00F8 0207F750
	v_cndmask_b32_e64 v28, v248, v250, s[78:79]                // 000000008484: D100001C 013BF5F8
	v_cmp_u_f32_e64 s[78:79], v81, v81                         // 00000000848C: D048004E 0002A351
	v_add3_u32 v248, v81, v251, 1                              // 000000008494: D1FF00F8 0207F751
	v_cndmask_b32_e64 v29, v248, v250, s[78:79]                // 00000000849C: D100001D 013BF5F8
	v_perm_b32 v76, v29, v28, s64                              // 0000000084A4: D1ED004C 0102391D
	v_cmp_u_f32_e64 s[78:79], v82, v82                         // 0000000084AC: D048004E 0002A552
	v_add3_u32 v248, v82, v251, 1                              // 0000000084B4: D1FF00F8 0207F752
	v_cndmask_b32_e64 v28, v248, v250, s[78:79]                // 0000000084BC: D100001C 013BF5F8
	v_cmp_u_f32_e64 s[78:79], v83, v83                         // 0000000084C4: D048004E 0002A753
	v_add3_u32 v248, v83, v251, 1                              // 0000000084CC: D1FF00F8 0207F753
	v_cndmask_b32_e64 v29, v248, v250, s[78:79]                // 0000000084D4: D100001D 013BF5F8
	v_perm_b32 v77, v29, v28, s64                              // 0000000084DC: D1ED004D 0102391D
	v_mfma_f32_16x16x16_bf16 v[212:215], v[122:123], v[146:147], v[212:215]// 0000000084E4: D3E100D4 0753257A
	v_mov_b32_dpp v16, v75 quad_perm:[1,0,3,2] row_mask:0xf bank_mask:0xf// 0000000084EC: 7E2002FA FF00B14B
	v_perm_b32 v51, v16, v75, v15                              // 0000000084F4: D1ED0033 043E9710
	v_mov_b32_dpp v16, v76 quad_perm:[1,0,3,2] row_mask:0xf bank_mask:0xf// 0000000084FC: 7E2002FA FF00B14C
	v_mfma_f32_16x16x16_bf16 v[216:219], v[108:109], v[148:149], v[216:219]// 000000008504: D3E100D8 0763296C
	ds_write_b32 v18, v51 offset:20256                         // 00000000850C: D81A4F20 00003312
	v_mfma_f32_16x16x16_bf16 v[220:223], v[110:111], v[148:149], v[220:223]// 000000008514: D3E100DC 0773296E
	v_perm_b32 v52, v16, v76, v15                              // 00000000851C: D1ED0034 043E9910
	v_mov_b32_dpp v16, v77 quad_perm:[1,0,3,2] row_mask:0xf bank_mask:0xf// 000000008524: 7E2002FA FF00B14D
	v_perm_b32 v53, v16, v77, v15                              // 00000000852C: D1ED0035 043E9B10
	v_mfma_f32_16x16x16_bf16 v[224:227], v[112:113], v[148:149], v[224:227]// 000000008534: D3E100E0 07832970
	ds_write_b32 v18, v52 offset:22016                         // 00000000853C: D81A5600 00003412
	ds_write_b32 v18, v53 offset:22560                         // 000000008544: D81A5820 00003512
	v_mfma_f32_16x16x16_bf16 v[228:231], v[114:115], v[148:149], v[228:231]// 00000000854C: D3E100E4 07932972
	v_mfma_f32_16x16x16_bf16 v[232:235], v[116:117], v[148:149], v[232:235]// 000000008554: D3E100E8 07A32974
	ds_write_b32 v13, v84 offset:4352                          // 00000000855C: D81A1100 0000540D
	ds_write_b32 v13, v85 offset:5408                          // 000000008564: D81A1520 0000550D
	v_mfma_f32_16x16x16_bf16 v[236:239], v[118:119], v[148:149], v[236:239]// 00000000856C: D3E100EC 07B32976
	v_mfma_f32_16x16x16_bf16 v[240:243], v[120:121], v[148:149], v[240:243]// 000000008574: D3E100F0 07C32978
	ds_write_b32 v13, v86 offset:4480                          // 00000000857C: D81A1180 0000560D
	ds_write_b32 v13, v87 offset:5536                          // 000000008584: D81A15A0 0000570D
	v_mfma_f32_16x16x16_bf16 v[244:247], v[122:123], v[148:149], v[244:247]// 00000000858C: D3E100F4 07D3297A
	s_nop 0                                                    // 000000008594: BF800000
	s_nop 0                                                    // 000000008598: BF800000
	s_nop 0                                                    // 00000000859C: BF800000
	s_barrier                                                  // 0000000085A0: BF8A0000
	v_mfma_f32_16x16x16_bf16 a[160:163], a[144:145], v[72:73], a[160:163]// 0000000085A4: D3E180A0 0E829190
	ds_read_b32 v124, v21 offset:51200                         // 0000000085AC: D86CC800 7C000015
	ds_read_b32 v150, v21 offset:51456                         // 0000000085B4: D86CC900 96000015
	v_mfma_f32_16x16x16_bf16 a[164:167], a[146:147], v[72:73], a[164:167]// 0000000085BC: D3E180A4 0E929192
	buffer_atomic_add_f32 v136, v7, s[32:35], 0 offen          // 0000000085C4: E1341000 80088807
	v_mfma_f32_16x16x16_bf16 a[168:171], a[148:149], v[72:73], a[168:171]// 0000000085CC: D3E180A8 0EA29194
	s_waitcnt lgkmcnt(6)                                       // 0000000085D4: BF8CC67F
	s_barrier                                                  // 0000000085D8: BF8A0000
	v_mfma_f32_16x16x16_bf16 a[172:175], a[150:151], v[72:73], a[172:175]// 0000000085DC: D3E180AC 0EB29196
	v_mfma_f32_16x16x16_bf16 a[176:179], a[152:153], v[72:73], a[176:179]// 0000000085E4: D3E180B0 0EC29198
	ds_read_b128 v[48:51], v17 offset:17408                    // 0000000085EC: D9FE4400 30000011
	v_mfma_f32_16x16x16_bf16 a[180:183], a[154:155], v[72:73], a[180:183]// 0000000085F4: D3E180B4 0ED2919A
	v_mfma_f32_16x16x16_bf16 a[184:187], a[156:157], v[72:73], a[184:187]// 0000000085FC: D3E180B8 0EE2919C
	ds_read_b128 v[52:55], v17 offset:18560                    // 000000008604: D9FE4880 34000011
	v_mfma_f32_16x16x16_bf16 a[188:191], a[158:159], v[72:73], a[188:191]// 00000000860C: D3E180BC 0EF2919E
	buffer_atomic_add_f32 v137, v8, s[32:35], 0 offen          // 000000008614: E1341000 80088908
	v_mfma_f32_16x16x16_bf16 a[192:195], a[144:145], v[74:75], a[192:195]// 00000000861C: D3E180C0 0F029590
	ds_read_b128 v[56:59], v17 offset:19712                    // 000000008624: D9FE4D00 38000011
	v_mfma_f32_16x16x16_bf16 a[196:199], a[146:147], v[74:75], a[196:199]// 00000000862C: D3E180C4 0F129592
	v_mfma_f32_16x16x16_bf16 a[200:203], a[148:149], v[74:75], a[200:203]// 000000008634: D3E180C8 0F229594
	ds_read_b128 v[60:63], v17 offset:20864                    // 00000000863C: D9FE5180 3C000011
	v_mfma_f32_16x16x16_bf16 a[204:207], a[150:151], v[74:75], a[204:207]// 000000008644: D3E180CC 0F329596
	v_mfma_f32_16x16x16_bf16 a[208:211], a[152:153], v[74:75], a[208:211]// 00000000864C: D3E180D0 0F429598
	ds_read_b128 v[64:67], v17 offset:22016                    // 000000008654: D9FE5600 40000011
	v_mfma_f32_16x16x16_bf16 a[212:215], a[154:155], v[74:75], a[212:215]// 00000000865C: D3E180D4 0F52959A
	buffer_atomic_add_f32 v138, v7, s[32:35], 0 offen offset:128// 000000008664: E1341080 80088A07
	v_mfma_f32_16x16x16_bf16 a[216:219], a[156:157], v[74:75], a[216:219]// 00000000866C: D3E180D8 0F62959C
	ds_read_b128 v[68:71], v17 offset:23168                    // 000000008674: D9FE5A80 44000011
	v_mfma_f32_16x16x16_bf16 a[220:223], a[158:159], v[74:75], a[220:223]// 00000000867C: D3E180DC 0F72959E
	v_mfma_f32_16x16x16_bf16 a[224:227], a[144:145], v[76:77], a[224:227]// 000000008684: D3E180E0 0F829990
	ds_write_b32 v13, v88 offset:13056                         // 00000000868C: D81A3300 0000580D
	v_mfma_f32_16x16x16_bf16 a[228:231], a[146:147], v[76:77], a[228:231]// 000000008694: D3E180E4 0F929992
	v_mfma_f32_16x16x16_bf16 a[232:235], a[148:149], v[76:77], a[232:235]// 00000000869C: D3E180E8 0FA29994
	ds_write_b32 v13, v89 offset:14112                         // 0000000086A4: D81A3720 0000590D
	v_mfma_f32_16x16x16_bf16 a[236:239], a[150:151], v[76:77], a[236:239]// 0000000086AC: D3E180EC 0FB29996
	buffer_atomic_add_f32 v139, v8, s[32:35], 0 offen offset:128// 0000000086B4: E1341080 80088B08
	v_mfma_f32_16x16x16_bf16 a[240:243], a[152:153], v[76:77], a[240:243]// 0000000086BC: D3E180F0 0FC29998
	ds_write_b32 v13, v90 offset:13184                         // 0000000086C4: D81A3380 00005A0D
	v_mfma_f32_16x16x16_bf16 a[244:247], a[154:155], v[76:77], a[244:247]// 0000000086CC: D3E180F4 0FD2999A
	v_mfma_f32_16x16x16_bf16 a[248:251], a[156:157], v[76:77], a[248:251]// 0000000086D4: D3E180F8 0FE2999C
	ds_write_b32 v13, v91 offset:14240                         // 0000000086DC: D81A37A0 00005B0D
	v_mfma_f32_16x16x16_bf16 a[252:255], a[158:159], v[76:77], a[252:255]// 0000000086E4: D3E180FC 0FF2999E
	s_waitcnt vmcnt(8) lgkmcnt(4)                              // 0000000086EC: BF8C0478
	s_barrier                                                  // 0000000086F0: BF8A0000
	v_mfma_f32_16x16x16_bf16 v[128:131], v[48:49], a[48:49], 0 // 0000000086F4: D3E10080 12026130
	ds_read_b128 a[144:147], v10                               // 0000000086FC: DBFE0000 9000000A
	buffer_load_dword v36, v1, s[8:11], 0 idxen                // 000000008704: E0502000 80022401
	v_mfma_f32_16x16x16_bf16 v[128:131], v[50:51], a[52:53], v[128:131]// 00000000870C: D3E10080 16026932
	v_mul_f32_e32 v124, s48, v124                              // 000000008714: 0AF8F830
	s_nop 0                                                    // 000000008718: BF800000
	v_mfma_f32_16x16x16_bf16 v[128:131], v[52:53], a[56:57], v[128:131]// 00000000871C: D3E10080 16027134
	ds_read_b128 a[148:151], v10 offset:512                    // 000000008724: DBFE0200 9400000A
	buffer_load_dword v37, v2, s[8:11], 0 idxen                // 00000000872C: E0502000 80022502
	v_mfma_f32_16x16x16_bf16 v[128:131], v[54:55], a[60:61], v[128:131]// 000000008734: D3E10080 16027936
	v_mfma_f32_16x16x16_bf16 v[128:131], v[56:57], a[64:65], v[128:131]// 00000000873C: D3E10080 16028138
	ds_read_b128 a[152:155], v10 offset:2176                   // 000000008744: DBFE0880 9800000A
	buffer_load_dword v38, v3, s[8:11], 0 idxen                // 00000000874C: E0502000 80022603
	v_mfma_f32_16x16x16_bf16 v[128:131], v[58:59], a[68:69], v[128:131]// 000000008754: D3E10080 1602893A
	v_perm_b32 v84, v33, v32, s63                              // 00000000875C: D1ED0054 00FE4121
	v_perm_b32 v85, v33, v32, s64                              // 000000008764: D1ED0055 01024121
	v_mfma_f32_16x16x16_bf16 v[128:131], v[60:61], a[72:73], v[128:131]// 00000000876C: D3E10080 1602913C
	ds_read_b128 a[156:159], v10 offset:2688                   // 000000008774: DBFE0A80 9C00000A
	buffer_load_dword v39, v4, s[8:11], 0 idxen                // 00000000877C: E0502000 80022704
	v_mfma_f32_16x16x16_bf16 v[128:131], v[62:63], a[76:77], v[128:131]// 000000008784: D3E10080 1602993E
	v_perm_b32 v86, v35, v34, s63                              // 00000000878C: D1ED0056 00FE4523
	v_perm_b32 v87, v35, v34, s64                              // 000000008794: D1ED0057 01024523
	v_mfma_f32_16x16x16_bf16 v[128:131], v[64:65], a[80:81], v[128:131]// 00000000879C: D3E10080 1602A140
	ds_read_b128 v[92:95], v10 offset:8704                     // 0000000087A4: D9FE2200 5C00000A
	buffer_load_dword v44, v252, s[20:23], 0 idxen             // 0000000087AC: E0502000 80052CFC
	v_mfma_f32_16x16x16_bf16 v[128:131], v[66:67], a[84:85], v[128:131]// 0000000087B4: D3E10080 1602A942
	v_perm_b32 v88, v41, v40, s63                              // 0000000087BC: D1ED0058 00FE5129
	v_perm_b32 v89, v41, v40, s64                              // 0000000087C4: D1ED0059 01025129
	v_mfma_f32_16x16x16_bf16 v[128:131], v[68:69], a[88:89], v[128:131]// 0000000087CC: D3E10080 1602B144
	ds_read_b128 v[96:99], v10 offset:9216                     // 0000000087D4: D9FE2400 6000000A
	buffer_load_dword v45, v253, s[20:23], 0 idxen             // 0000000087DC: E0502000 80052DFD
	v_mfma_f32_16x16x16_bf16 v[128:131], v[70:71], a[92:93], v[128:131]// 0000000087E4: D3E10080 1602B946
	v_perm_b32 v90, v43, v42, s63                              // 0000000087EC: D1ED005A 00FE552B
	v_perm_b32 v91, v43, v42, s64                              // 0000000087F4: D1ED005B 0102552B
	v_mfma_f32_16x16x16_bf16 v[132:135], v[48:49], a[50:51], 0 // 0000000087FC: D3E10084 12026530
	ds_read_b128 v[100:103], v10 offset:10880                  // 000000008804: D9FE2A80 6400000A
	buffer_load_dword v46, v254, s[20:23], 0 idxen             // 00000000880C: E0502000 80052EFE
	v_mfma_f32_16x16x16_bf16 v[132:135], v[50:51], a[54:55], v[132:135]// 000000008814: D3E10084 16126D32
	v_mov_b32_dpp v127, v124 quad_perm:[3,3,3,3] row_mask:0xf bank_mask:0xf// 00000000881C: 7EFE02FA FF00FF7C
	v_mov_b32_dpp v126, v124 quad_perm:[2,2,2,2] row_mask:0xf bank_mask:0xf// 000000008824: 7EFC02FA FF00AA7C
	v_mfma_f32_16x16x16_bf16 v[132:135], v[52:53], a[58:59], v[132:135]// 00000000882C: D3E10084 16127534
	ds_read_b128 v[104:107], v10 offset:11392                  // 000000008834: D9FE2C80 6800000A
	buffer_load_dword v47, v255, s[20:23], 0 idxen             // 00000000883C: E0502000 80052FFF
	v_mfma_f32_16x16x16_bf16 v[132:135], v[54:55], a[62:63], v[132:135]// 000000008844: D3E10084 16127D36
	v_mov_b32_dpp v125, v124 quad_perm:[1,1,1,1] row_mask:0xf bank_mask:0xf// 00000000884C: 7EFA02FA FF00557C
	v_mov_b32_dpp v124, v124 quad_perm:[0,0,0,0] row_mask:0xf bank_mask:0xf// 000000008854: 7EF802FA FF00007C
	s_add_u32 s60, 64, s59                                     // 00000000885C: 803C3BC0
	v_mfma_f32_16x16x16_bf16 v[132:135], v[56:57], a[66:67], v[132:135]// 000000008860: D3E10084 16128538
	buffer_load_dword v9, s[24:27], 0 idxen lds                // 000000008868: E0512000 80060009
	v_mfma_f32_16x16x16_bf16 v[132:135], v[58:59], a[70:71], v[132:135]// 000000008870: D3E10084 16128D3A
	s_cmp_lt_u32 s60, s58                                      // 000000008878: BF0A3A3C
	s_cselect_b32 s68, s68, 0                                  // 00000000887C: 85448044
	s_cselect_b32 s100, s100, 0                                // 000000008880: 85648064
	s_cselect_b32 s69, s69, 0                                  // 000000008884: 85458045
	v_mfma_f32_16x16x16_bf16 v[132:135], v[60:61], a[74:75], v[132:135]// 000000008888: D3E10084 1612953C
	v_add_u32_e32 v1, s68, v1                                  // 000000008890: 68020244
	v_add_u32_e32 v2, s68, v2                                  // 000000008894: 68040444
	;; [unrolled: 1-line block ×3, first 2 shown]
	v_add_u32_e32 v4, s68, v4                                  // 00000000889C: 68080844
	v_mfma_f32_16x16x16_bf16 v[132:135], v[62:63], a[78:79], v[132:135]// 0000000088A0: D3E10084 16129D3E
	v_add_u32_e32 v252, s100, v252                             // 0000000088A8: 69F9F864
	v_add_u32_e32 v253, s100, v253                             // 0000000088AC: 69FBFA64
	v_add_u32_e32 v254, s100, v254                             // 0000000088B0: 69FDFC64
	v_add_u32_e32 v255, s100, v255                             // 0000000088B4: 69FFFE64
	v_mfma_f32_16x16x16_bf16 v[132:135], v[64:65], a[82:83], v[132:135]// 0000000088B8: D3E10084 1612A540
	s_mov_b32 m0, s80                                          // 0000000088C0: BEFC0050
	v_add_u32_e32 v9, s69, v9                                  // 0000000088C4: 68121245
	v_mfma_f32_16x16x16_bf16 v[132:135], v[66:67], a[86:87], v[132:135]// 0000000088C8: D3E10084 1612AD42
	s_cmp_ge_u32 s59, s73                                      // 0000000088D0: BF09493B
	s_cselect_b32 s66, s67, s66                                // 0000000088D4: 85424243
	v_mfma_f32_16x16x16_bf16 v[132:135], v[68:69], a[90:91], v[132:135]// 0000000088D8: D3E10084 1612B544
	s_addk_i32 s59, 0x10                                       // 0000000088E0: B73B0010
	s_nop 0                                                    // 0000000088E4: BF800000
	s_cmp_lt_i32 s59, s58                                      // 0000000088E8: BF043A3B
	v_mfma_f32_16x16x16_bf16 v[132:135], v[70:71], a[94:95], v[132:135]// 0000000088EC: D3E10084 1612BD46
	s_cbranch_scc0 label_0F66                                  // 0000000088F4: BF84FC9E
	s_waitcnt lgkmcnt(0)                                       // 0000000088F8: BF8CC07F
	s_barrier                                                  // 0000000088FC: BF8A0000
	v_mfma_f32_16x16x16_bf16 v[48:51], a[144:145], a[0:1], 0   // 000000008900: D3E10030 1A020190
	v_mul_f32_e32 v128, s47, v128                              // 000000008908: 0B01002F
	v_mul_f32_e32 v129, s47, v129                              // 00000000890C: 0B03022F
	v_mfma_f32_16x16x16_bf16 v[48:51], a[146:147], a[2:3], v[48:51]// 000000008910: D3E10030 1CC20592
	ds_write_b32 v11, v40 offset:8704                          // 000000008918: D81A2200 0000280B
	ds_write_b32 v11, v41 offset:9760                          // 000000008920: D81A2620 0000290B
	v_mfma_f32_16x16x16_bf16 v[48:51], a[148:149], a[4:5], v[48:51]// 000000008928: D3E10030 1CC20994
	v_mul_f32_e32 v130, s47, v130                              // 000000008930: 0B05042F
	v_mul_f32_e32 v131, s47, v131                              // 000000008934: 0B07062F
	v_mfma_f32_16x16x16_bf16 v[48:51], a[150:151], a[6:7], v[48:51]// 000000008938: D3E10030 1CC20D96
	ds_write_b32 v11, v42 offset:8832                          // 000000008940: D81A2280 00002A0B
	ds_write_b32 v11, v43 offset:9888                          // 000000008948: D81A26A0 00002B0B
	v_mfma_f32_16x16x16_bf16 v[48:51], a[152:153], a[8:9], v[48:51]// 000000008950: D3E10030 1CC21198
	v_mul_f32_e32 v132, s47, v132                              // 000000008958: 0B09082F
	v_mul_f32_e32 v133, s47, v133                              // 00000000895C: 0B0B0A2F
	v_mfma_f32_16x16x16_bf16 v[48:51], a[154:155], a[10:11], v[48:51]// 000000008960: D3E10030 1CC2159A
	ds_write_b64 v20, v[128:129] offset:24320                  // 000000008968: D89A5F00 00008014
	v_mfma_f32_16x16x16_bf16 v[48:51], a[156:157], a[12:13], v[48:51]// 000000008970: D3E10030 1CC2199C
	v_mul_f32_e32 v134, s47, v134                              // 000000008978: 0B0D0C2F
	v_mul_f32_e32 v135, s47, v135                              // 00000000897C: 0B0F0E2F
	v_mfma_f32_16x16x16_bf16 v[48:51], a[158:159], a[14:15], v[48:51]// 000000008980: D3E10030 1CC21D9E
	ds_write_b64 v20, v[130:131] offset:24832                  // 000000008988: D89A6100 00008214
	v_mfma_f32_16x16x16_bf16 v[52:55], a[144:145], a[16:17], 0 // 000000008990: D3E10034 1A022190
	buffer_atomic_add_f32 v140, v7, s[32:35], 0 offen offset:256// 000000008998: E1341100 80088C07
	v_mfma_f32_16x16x16_bf16 v[52:55], a[146:147], a[18:19], v[52:55]// 0000000089A0: D3E10034 1CD22592
	ds_write_b64 v20, v[132:133] offset:25344                  // 0000000089A8: D89A6300 00008414
	v_mfma_f32_16x16x16_bf16 v[52:55], a[148:149], a[20:21], v[52:55]// 0000000089B0: D3E10034 1CD22994
	v_mfma_f32_16x16x16_bf16 v[52:55], a[150:151], a[22:23], v[52:55]// 0000000089B8: D3E10034 1CD22D96
	ds_write_b64 v20, v[134:135] offset:25856                  // 0000000089C0: D89A6500 00008614
	v_mfma_f32_16x16x16_bf16 v[52:55], a[152:153], a[24:25], v[52:55]// 0000000089C8: D3E10034 1CD23198
	buffer_atomic_add_f32 v141, v8, s[32:35], 0 offen offset:256// 0000000089D0: E1341100 80088D08
	v_mfma_f32_16x16x16_bf16 v[52:55], a[154:155], a[26:27], v[52:55]// 0000000089D8: D3E10034 1CD2359A
	ds_read_b128 v[108:111], v12 offset:13056                  // 0000000089E0: D9FE3300 6C00000C
	ds_write_b32 v11, v32                                      // 0000000089E8: D81A0000 0000200B
	v_mfma_f32_16x16x16_bf16 v[52:55], a[156:157], a[28:29], v[52:55]// 0000000089F0: D3E10034 1CD2399C
	v_mfma_f32_16x16x16_bf16 v[52:55], a[158:159], a[30:31], v[52:55]// 0000000089F8: D3E10034 1CD23D9E
	v_mfma_f32_16x16x16_bf16 v[56:59], a[144:145], a[32:33], 0 // 000000008A00: D3E10038 1A024190
	ds_read_b128 v[112:115], v12 offset:13568                  // 000000008A08: D9FE3500 7000000C
	ds_write_b32 v11, v33 offset:1056                          // 000000008A10: D81A0420 0000210B
	v_mfma_f32_16x16x16_bf16 v[56:59], a[146:147], a[34:35], v[56:59]// 000000008A18: D3E10038 1CE24592
	buffer_atomic_add_f32 v142, v7, s[32:35], 0 offen offset:384// 000000008A20: E1341180 80088E07
	v_mfma_f32_16x16x16_bf16 v[56:59], a[148:149], a[36:37], v[56:59]// 000000008A28: D3E10038 1CE24994
	v_mfma_f32_16x16x16_bf16 v[56:59], a[150:151], a[38:39], v[56:59]// 000000008A30: D3E10038 1CE24D96
	ds_read_b128 v[116:119], v12 offset:15232                  // 000000008A38: D9FE3B80 7400000C
	ds_write_b32 v11, v34 offset:128                           // 000000008A40: D81A0080 0000220B
	v_mfma_f32_16x16x16_bf16 v[56:59], a[152:153], a[40:41], v[56:59]// 000000008A48: D3E10038 1CE25198
	v_mfma_f32_16x16x16_bf16 v[56:59], a[154:155], a[42:43], v[56:59]// 000000008A50: D3E10038 1CE2559A
	buffer_atomic_add_f32 v143, v8, s[32:35], 0 offen offset:384// 000000008A58: E1341180 80088F08
	v_mfma_f32_16x16x16_bf16 v[56:59], a[156:157], a[44:45], v[56:59]// 000000008A60: D3E10038 1CE2599C
	ds_read_b128 v[120:123], v12 offset:15744                  // 000000008A68: D9FE3D80 7800000C
	ds_write_b32 v11, v35 offset:1184                          // 000000008A70: D81A04A0 0000230B
	v_mfma_f32_16x16x16_bf16 v[56:59], a[158:159], a[46:47], v[56:59]// 000000008A78: D3E10038 1CE25D9E
	s_cmp_eq_i32 s88, 0                                        // 000000008A80: BF008058
	s_cbranch_scc1 label_13C5                                  // 000000008A84: BF85008F
	s_cmp_lt_i32 s74, 12                                       // 000000008A88: BF048C4A
	s_cbranch_scc0 label_1370                                  // 000000008A8C: BF84003D
	s_lshl_b32 s60, s74, 4                                     // 000000008A90: 8E3C844A
	v_sub_i32 v28, v25, s60                                    // 000000008A94: D29D001C 00007919
	s_mov_b32 s61, 0                                           // 000000008A9C: BEBD0080
	v_add_i32 v29, v28, s61                                    // 000000008AA0: D29C001D 00007B1C
	v_cmp_gt_i32_e64 s[60:61], v29, 0                          // 000000008AA8: D0C4003C 0001011D
	v_cmp_gt_i32_e64 s[70:71], v29, 1                          // 000000008AB0: D0C40046 0001031D
	v_cndmask_b32_e64 v48, v48, v151, s[60:61]                 // 000000008AB8: D1000030 00F32F30
	v_cndmask_b32_e64 v49, v49, v151, s[70:71]                 // 000000008AC0: D1000031 011B2F31
	v_cmp_gt_i32_e64 s[60:61], v29, 2                          // 000000008AC8: D0C4003C 0001051D
	v_cmp_gt_i32_e64 s[70:71], v29, 3                          // 000000008AD0: D0C40046 0001071D
	v_cndmask_b32_e64 v50, v50, v151, s[60:61]                 // 000000008AD8: D1000032 00F32F32
	v_cndmask_b32_e64 v51, v51, v151, s[70:71]                 // 000000008AE0: D1000033 011B2F33
	s_mov_b32 s61, 64                                          // 000000008AE8: BEBD00C0
	v_add_i32 v29, v28, s61                                    // 000000008AEC: D29C001D 00007B1C
	v_cmp_gt_i32_e64 s[60:61], v29, 0                          // 000000008AF4: D0C4003C 0001011D
	v_cmp_gt_i32_e64 s[70:71], v29, 1                          // 000000008AFC: D0C40046 0001031D
	v_cndmask_b32_e64 v52, v52, v151, s[60:61]                 // 000000008B04: D1000034 00F32F34
	v_cndmask_b32_e64 v53, v53, v151, s[70:71]                 // 000000008B0C: D1000035 011B2F35
	v_cmp_gt_i32_e64 s[60:61], v29, 2                          // 000000008B14: D0C4003C 0001051D
	v_cmp_gt_i32_e64 s[70:71], v29, 3                          // 000000008B1C: D0C40046 0001071D
	v_cndmask_b32_e64 v54, v54, v151, s[60:61]                 // 000000008B24: D1000036 00F32F36
	v_cndmask_b32_e64 v55, v55, v151, s[70:71]                 // 000000008B2C: D1000037 011B2F37
	s_mov_b32 s61, 0x80                                        // 000000008B34: BEBD00FF 00000080
	v_add_i32 v29, v28, s61                                    // 000000008B3C: D29C001D 00007B1C
	v_cmp_gt_i32_e64 s[60:61], v29, 0                          // 000000008B44: D0C4003C 0001011D
	v_cmp_gt_i32_e64 s[70:71], v29, 1                          // 000000008B4C: D0C40046 0001031D
	v_cndmask_b32_e64 v56, v56, v151, s[60:61]                 // 000000008B54: D1000038 00F32F38
	v_cndmask_b32_e64 v57, v57, v151, s[70:71]                 // 000000008B5C: D1000039 011B2F39
	v_cmp_gt_i32_e64 s[60:61], v29, 2                          // 000000008B64: D0C4003C 0001051D
	v_cmp_gt_i32_e64 s[70:71], v29, 3                          // 000000008B6C: D0C40046 0001071D
	v_cndmask_b32_e64 v58, v58, v151, s[60:61]                 // 000000008B74: D100003A 00F32F3A
	v_cndmask_b32_e64 v59, v59, v151, s[70:71]                 // 000000008B7C: D100003B 011B2F3B

0000000000008b84 <label_1370>:
	s_cmp_lt_i32 s84, 0xc0                                     // 000000008B84: BF04FF54 000000C0
	s_cbranch_scc0 label_13C5                                  // 000000008B8C: BF84004D
	s_cmp_le_i32 s84, 64                                       // 000000008B90: BF05C054
	s_cbranch_scc1 label_137C                                  // 000000008B94: BF850007
	s_cmp_le_i32 s84, 0x80                                     // 000000008B98: BF05FF54 00000080
	s_cbranch_scc1 label_1394                                  // 000000008BA0: BF850017
	s_cmp_lt_i32 s84, 0xc0                                     // 000000008BA4: BF04FF54 000000C0
	s_cbranch_scc1 label_13AC                                  // 000000008BAC: BF85002C
	s_branch label_13C5                                        // 000000008BB0: BF820044

0000000000008bb4 <label_137C>:
	s_mov_b32 s60, 0                                           // 000000008BB4: BEBC0080
	v_and_b32_e32 v28, 15, v0                                  // 000000008BB8: 2638008F
	v_add_u32_e64 v28, v28, s60                                // 000000008BBC: D134001C 0000791C
	v_mul_i32_i24_e64 v29, s46, 16                             // 000000008BC4: D106001D 0001202E
	v_add_u32_e32 v28, v28, v29                                // 000000008BCC: 68383B1C
	v_cmp_lt_u32_e64 s[60:61], v28, s84                        // 000000008BD0: D0C9003C 0000A91C
	s_nop 1                                                    // 000000008BD8: BF800001
	v_cndmask_b32_e64 v48, v151, v48, s[60:61]                 // 000000008BDC: D1000030 00F26197
	v_cndmask_b32_e64 v49, v151, v49, s[60:61]                 // 000000008BE4: D1000031 00F26397
	v_cndmask_b32_e64 v50, v151, v50, s[60:61]                 // 000000008BEC: D1000032 00F26597
	v_cndmask_b32_e64 v51, v151, v51, s[60:61]                 // 000000008BF4: D1000033 00F26797
	s_branch label_13A7                                        // 000000008BFC: BF820013

0000000000008c00 <label_1394>:
	s_mov_b32 s60, 64                                          // 000000008C00: BEBC00C0
	v_and_b32_e32 v28, 15, v0                                  // 000000008C04: 2638008F
	v_add_u32_e64 v28, v28, s60                                // 000000008C08: D134001C 0000791C
	v_mul_i32_i24_e64 v29, s46, 16                             // 000000008C10: D106001D 0001202E
	v_add_u32_e32 v28, v28, v29                                // 000000008C18: 68383B1C
	v_cmp_lt_u32_e64 s[60:61], v28, s84                        // 000000008C1C: D0C9003C 0000A91C
	s_nop 1                                                    // 000000008C24: BF800001
	v_cndmask_b32_e64 v52, v151, v52, s[60:61]                 // 000000008C28: D1000034 00F26997
	v_cndmask_b32_e64 v53, v151, v53, s[60:61]                 // 000000008C30: D1000035 00F26B97
	v_cndmask_b32_e64 v54, v151, v54, s[60:61]                 // 000000008C38: D1000036 00F26D97
	v_cndmask_b32_e64 v55, v151, v55, s[60:61]                 // 000000008C40: D1000037 00F26F97
	s_branch label_13C0                                        // 000000008C48: BF820019

0000000000008c4c <label_13A7>:
	v_mov_b32_e32 v52, v151                                    // 000000008C4C: 7E680397
	v_mov_b32_e32 v53, v151                                    // 000000008C50: 7E6A0397
	v_mov_b32_e32 v54, v151                                    // 000000008C54: 7E6C0397
	v_mov_b32_e32 v55, v151                                    // 000000008C58: 7E6E0397
	s_branch label_13C0                                        // 000000008C5C: BF820014

0000000000008c60 <label_13AC>:
	s_mov_b32 s60, 0x80                                        // 000000008C60: BEBC00FF 00000080
	v_and_b32_e32 v28, 15, v0                                  // 000000008C68: 2638008F
	v_add_u32_e64 v28, v28, s60                                // 000000008C6C: D134001C 0000791C
	v_mul_i32_i24_e64 v29, s46, 16                             // 000000008C74: D106001D 0001202E
	v_add_u32_e32 v28, v28, v29                                // 000000008C7C: 68383B1C
	v_cmp_lt_u32_e64 s[60:61], v28, s84                        // 000000008C80: D0C9003C 0000A91C
	s_nop 1                                                    // 000000008C88: BF800001
	v_cndmask_b32_e64 v56, v151, v56, s[60:61]                 // 000000008C8C: D1000038 00F27197
	v_cndmask_b32_e64 v57, v151, v57, s[60:61]                 // 000000008C94: D1000039 00F27397
	v_cndmask_b32_e64 v58, v151, v58, s[60:61]                 // 000000008C9C: D100003A 00F27597
	v_cndmask_b32_e64 v59, v151, v59, s[60:61]                 // 000000008CA4: D100003B 00F27797
	s_branch label_13C5                                        // 000000008CAC: BF820005

0000000000008cb0 <label_13C0>:
	v_mov_b32_e32 v56, v151                                    // 000000008CB0: 7E700397
	v_mov_b32_e32 v57, v151                                    // 000000008CB4: 7E720397
	v_mov_b32_e32 v58, v151                                    // 000000008CB8: 7E740397
	v_mov_b32_e32 v59, v151                                    // 000000008CBC: 7E760397
	s_branch label_13C5                                        // 000000008CC0: BF820000

0000000000008cc4 <label_13C5>:
	s_addk_i32 s74, 0x1                                        // 000000008CC4: B74A0001
	s_waitcnt lgkmcnt(8)                                       // 000000008CC8: BF8CC87F
	s_barrier                                                  // 000000008CCC: BF8A0000
	v_mfma_f32_16x16x16_bf16 v[72:75], v[92:93], a[96:97], 0   // 000000008CD0: D3E10048 1202C15C
	v_fma_f32 v48, v48, s57, -v124                             // 000000008CD8: D1CB0030 85F07330
	v_fma_f32 v49, v49, s57, -v125                             // 000000008CE0: D1CB0031 85F47331
	v_fma_f32 v50, v50, s57, -v126                             // 000000008CE8: D1CB0032 85F87332
	v_mfma_f32_16x16x16_bf16 v[72:75], v[94:95], a[98:99], v[72:75]// 000000008CF0: D3E10048 1522C55E
	ds_read_b128 a[144:147], v12 offset:4352                   // 000000008CF8: DBFE1100 9000000C
	ds_read_b128 a[148:151], v12 offset:4864                   // 000000008D00: DBFE1300 9400000C
	v_mfma_f32_16x16x16_bf16 v[72:75], v[96:97], a[100:101], v[72:75]// 000000008D08: D3E10048 1522C960
	v_fma_f32 v51, v51, s57, -v127                             // 000000008D10: D1CB0033 85FC7333
	v_fma_f32 v52, v52, s57, -v124                             // 000000008D18: D1CB0034 85F07334
	v_fma_f32 v53, v53, s57, -v125                             // 000000008D20: D1CB0035 85F47335
	v_mfma_f32_16x16x16_bf16 v[72:75], v[98:99], a[102:103], v[72:75]// 000000008D28: D3E10048 1522CD62
	v_fma_f32 v54, v54, s57, -v126                             // 000000008D30: D1CB0036 85F87336
	v_fma_f32 v55, v55, s57, -v127                             // 000000008D38: D1CB0037 85FC7337
	v_fma_f32 v56, v56, s57, -v124                             // 000000008D40: D1CB0038 85F07338
	v_mfma_f32_16x16x16_bf16 v[72:75], v[100:101], a[104:105], v[72:75]// 000000008D48: D3E10048 1522D164
	v_fma_f32 v57, v57, s57, -v125                             // 000000008D50: D1CB0039 85F47339
	v_fma_f32 v58, v58, s57, -v126                             // 000000008D58: D1CB003A 85F8733A
	v_fma_f32 v59, v59, s57, -v127                             // 000000008D60: D1CB003B 85FC733B
	v_mfma_f32_16x16x16_bf16 v[72:75], v[102:103], a[106:107], v[72:75]// 000000008D68: D3E10048 1522D566
	ds_read_b128 a[152:155], v12 offset:6528                   // 000000008D70: DBFE1980 9800000C
	ds_read_b128 a[156:159], v12 offset:7040                   // 000000008D78: DBFE1B80 9C00000C
	v_mfma_f32_16x16x16_bf16 v[72:75], v[104:105], a[108:109], v[72:75]// 000000008D80: D3E10048 1522D968
	v_exp_f32_e32 v48, v48                                     // 000000008D88: 7E604130
	v_mfma_f32_16x16x16_bf16 v[72:75], v[106:107], a[110:111], v[72:75]// 000000008D8C: D3E10048 1522DD6A
	v_exp_f32_e32 v49, v49                                     // 000000008D94: 7E624131
	v_mfma_f32_16x16x16_bf16 v[76:79], v[92:93], a[112:113], 0 // 000000008D98: D3E1004C 1202E15C
	v_exp_f32_e32 v50, v50                                     // 000000008DA0: 7E644132
	v_mfma_f32_16x16x16_bf16 v[76:79], v[94:95], a[114:115], v[76:79]// 000000008DA4: D3E1004C 1532E55E
	ds_read_b64 v[136:137], v19 offset:24320                   // 000000008DAC: D8EC5F00 88000013
	ds_read_b64 v[138:139], v19 offset:26368                   // 000000008DB4: D8EC6700 8A000013
	v_mfma_f32_16x16x16_bf16 v[76:79], v[96:97], a[116:117], v[76:79]// 000000008DBC: D3E1004C 1532E960
	v_exp_f32_e32 v51, v51                                     // 000000008DC4: 7E664133
	v_mfma_f32_16x16x16_bf16 v[76:79], v[98:99], a[118:119], v[76:79]// 000000008DC8: D3E1004C 1532ED62
	ds_read_b64 v[140:141], v19 offset:28416                   // 000000008DD0: D8EC6F00 8C000013
	ds_read_b64 v[142:143], v19 offset:30464                   // 000000008DD8: D8EC7700 8E000013
	v_mfma_f32_16x16x16_bf16 v[76:79], v[100:101], a[120:121], v[76:79]// 000000008DE0: D3E1004C 1532F164
	v_exp_f32_e32 v52, v52                                     // 000000008DE8: 7E684134
	v_mfma_f32_16x16x16_bf16 v[76:79], v[102:103], a[122:123], v[76:79]// 000000008DEC: D3E1004C 1532F566
	v_exp_f32_e32 v53, v53                                     // 000000008DF4: 7E6A4135
	v_mfma_f32_16x16x16_bf16 v[76:79], v[104:105], a[124:125], v[76:79]// 000000008DF8: D3E1004C 1532F968
	v_exp_f32_e32 v54, v54                                     // 000000008E00: 7E6C4136
	v_mfma_f32_16x16x16_bf16 v[76:79], v[106:107], a[126:127], v[76:79]// 000000008E04: D3E1004C 1532FD6A
	v_exp_f32_e32 v55, v55                                     // 000000008E0C: 7E6E4137
	v_mfma_f32_16x16x16_bf16 v[80:83], v[92:93], a[128:129], 0 // 000000008E10: D3E10050 1203015C
	v_exp_f32_e32 v56, v56                                     // 000000008E18: 7E704138
	v_mfma_f32_16x16x16_bf16 v[80:83], v[94:95], a[130:131], v[80:83]// 000000008E1C: D3E10050 1543055E
	v_exp_f32_e32 v57, v57                                     // 000000008E24: 7E724139
	v_mfma_f32_16x16x16_bf16 v[80:83], v[96:97], a[132:133], v[80:83]// 000000008E28: D3E10050 15430960
	v_exp_f32_e32 v58, v58                                     // 000000008E30: 7E74413A
	v_mfma_f32_16x16x16_bf16 v[80:83], v[98:99], a[134:135], v[80:83]// 000000008E34: D3E10050 15430D62
	v_exp_f32_e32 v59, v59                                     // 000000008E3C: 7E76413B
	v_mfma_f32_16x16x16_bf16 v[80:83], v[100:101], a[136:137], v[80:83]// 000000008E40: D3E10050 15431164
	v_cmp_u_f32_e64 s[78:79], v48, v48                         // 000000008E48: D048004E 00026130
	v_add3_u32 v248, v48, v251, 1                              // 000000008E50: D1FF00F8 0207F730
	v_cndmask_b32_e64 v28, v248, v250, s[78:79]                // 000000008E58: D100001C 013BF5F8
	v_cmp_u_f32_e64 s[78:79], v49, v49                         // 000000008E60: D048004E 00026331
	v_add3_u32 v248, v49, v251, 1                              // 000000008E68: D1FF00F8 0207F731
	v_cndmask_b32_e64 v29, v248, v250, s[78:79]                // 000000008E70: D100001D 013BF5F8
	v_perm_b32 v144, v29, v28, s64                             // 000000008E78: D1ED0090 0102391D
	v_cmp_u_f32_e64 s[78:79], v50, v50                         // 000000008E80: D048004E 00026532
	v_add3_u32 v248, v50, v251, 1                              // 000000008E88: D1FF00F8 0207F732
	v_cndmask_b32_e64 v28, v248, v250, s[78:79]                // 000000008E90: D100001C 013BF5F8
	v_cmp_u_f32_e64 s[78:79], v51, v51                         // 000000008E98: D048004E 00026733
	v_add3_u32 v248, v51, v251, 1                              // 000000008EA0: D1FF00F8 0207F733
	v_cndmask_b32_e64 v29, v248, v250, s[78:79]                // 000000008EA8: D100001D 013BF5F8
	v_perm_b32 v145, v29, v28, s64                             // 000000008EB0: D1ED0091 0102391D
	v_cmp_u_f32_e64 s[78:79], v52, v52                         // 000000008EB8: D048004E 00026934
	v_add3_u32 v248, v52, v251, 1                              // 000000008EC0: D1FF00F8 0207F734
	v_cndmask_b32_e64 v28, v248, v250, s[78:79]                // 000000008EC8: D100001C 013BF5F8
	v_cmp_u_f32_e64 s[78:79], v53, v53                         // 000000008ED0: D048004E 00026B35
	v_add3_u32 v248, v53, v251, 1                              // 000000008ED8: D1FF00F8 0207F735
	v_cndmask_b32_e64 v29, v248, v250, s[78:79]                // 000000008EE0: D100001D 013BF5F8
	v_perm_b32 v146, v29, v28, s64                             // 000000008EE8: D1ED0092 0102391D
	v_mfma_f32_16x16x16_bf16 v[80:83], v[102:103], a[138:139], v[80:83]// 000000008EF0: D3E10050 15431566
	v_cmp_u_f32_e64 s[78:79], v54, v54                         // 000000008EF8: D048004E 00026D36
	v_add3_u32 v248, v54, v251, 1                              // 000000008F00: D1FF00F8 0207F736
	v_cndmask_b32_e64 v28, v248, v250, s[78:79]                // 000000008F08: D100001C 013BF5F8
	v_cmp_u_f32_e64 s[78:79], v55, v55                         // 000000008F10: D048004E 00026F37
	v_add3_u32 v248, v55, v251, 1                              // 000000008F18: D1FF00F8 0207F737
	v_cndmask_b32_e64 v29, v248, v250, s[78:79]                // 000000008F20: D100001D 013BF5F8
	v_perm_b32 v147, v29, v28, s64                             // 000000008F28: D1ED0093 0102391D
	v_cmp_u_f32_e64 s[78:79], v56, v56                         // 000000008F30: D048004E 00027138
	v_add3_u32 v248, v56, v251, 1                              // 000000008F38: D1FF00F8 0207F738
	v_cndmask_b32_e64 v28, v248, v250, s[78:79]                // 000000008F40: D100001C 013BF5F8
	v_cmp_u_f32_e64 s[78:79], v57, v57                         // 000000008F48: D048004E 00027339
	v_add3_u32 v248, v57, v251, 1                              // 000000008F50: D1FF00F8 0207F739
	v_cndmask_b32_e64 v29, v248, v250, s[78:79]                // 000000008F58: D100001D 013BF5F8
	v_perm_b32 v148, v29, v28, s64                             // 000000008F60: D1ED0094 0102391D
	v_cmp_u_f32_e64 s[78:79], v58, v58                         // 000000008F68: D048004E 0002753A
	v_add3_u32 v248, v58, v251, 1                              // 000000008F70: D1FF00F8 0207F73A
	v_cndmask_b32_e64 v28, v248, v250, s[78:79]                // 000000008F78: D100001C 013BF5F8
	v_cmp_u_f32_e64 s[78:79], v59, v59                         // 000000008F80: D048004E 0002773B
	v_add3_u32 v248, v59, v251, 1                              // 000000008F88: D1FF00F8 0207F73B
	v_cndmask_b32_e64 v29, v248, v250, s[78:79]                // 000000008F90: D100001D 013BF5F8
	v_perm_b32 v149, v29, v28, s64                             // 000000008F98: D1ED0095 0102391D
	v_mfma_f32_16x16x16_bf16 v[80:83], v[104:105], a[140:141], v[80:83]// 000000008FA0: D3E10050 15431968
	v_add_u32_e32 v7, s66, v7                                  // 000000008FA8: 680E0E42
	v_add_u32_e32 v8, s66, v8                                  // 000000008FAC: 68101042
	v_mfma_f32_16x16x16_bf16 v[80:83], v[106:107], a[142:143], v[80:83]// 000000008FB0: D3E10050 15431D6A
	s_waitcnt lgkmcnt(0)                                       // 000000008FB8: BF8CC07F
	s_barrier                                                  // 000000008FBC: BF8A0000
	v_mfma_f32_16x16x16_bf16 v[152:155], v[108:109], v[144:145], v[152:155]// 000000008FC0: D3E10098 0663216C
	v_subrev_f32_dpp v72, v150, v72 quad_perm:[0,0,0,0] row_mask:0xf bank_mask:0xf// 000000008FC8: 069090FA FF000096
	v_subrev_f32_dpp v73, v150, v73 quad_perm:[1,1,1,1] row_mask:0xf bank_mask:0xf// 000000008FD0: 069292FA FF005596
	v_subrev_f32_dpp v74, v150, v74 quad_perm:[2,2,2,2] row_mask:0xf bank_mask:0xf// 000000008FD8: 069494FA FF00AA96
	v_mfma_f32_16x16x16_bf16 v[156:159], v[110:111], v[144:145], v[156:159]// 000000008FE0: D3E1009C 0673216E
	v_subrev_f32_dpp v75, v150, v75 quad_perm:[3,3,3,3] row_mask:0xf bank_mask:0xf// 000000008FE8: 069696FA FF00FF96
	v_subrev_f32_dpp v76, v150, v76 quad_perm:[0,0,0,0] row_mask:0xf bank_mask:0xf// 000000008FF0: 069898FA FF000096
	v_subrev_f32_dpp v77, v150, v77 quad_perm:[1,1,1,1] row_mask:0xf bank_mask:0xf// 000000008FF8: 069A9AFA FF005596
	v_mfma_f32_16x16x16_bf16 v[160:163], v[112:113], v[144:145], v[160:163]// 000000009000: D3E100A0 06832170
	v_mul_f32_e32 v72, v48, v72                                // 000000009008: 0A909130
	v_mul_f32_e32 v73, v49, v73                                // 00000000900C: 0A929331
	v_mul_f32_e32 v74, v50, v74                                // 000000009010: 0A949532
	v_mfma_f32_16x16x16_bf16 v[164:167], v[114:115], v[144:145], v[164:167]// 000000009014: D3E100A4 06932172
	v_mul_f32_e32 v75, v51, v75                                // 00000000901C: 0A969733
	v_mul_f32_e32 v76, v52, v76                                // 000000009020: 0A989934
	v_mul_f32_e32 v77, v53, v77                                // 000000009024: 0A9A9B35
	v_mfma_f32_16x16x16_bf16 v[168:171], v[116:117], v[144:145], v[168:171]// 000000009028: D3E100A8 06A32174
	v_cmp_u_f32_e64 s[78:79], v72, v72                         // 000000009030: D048004E 00029148
	v_add3_u32 v248, v72, v251, 1                              // 000000009038: D1FF00F8 0207F748
	v_cndmask_b32_e64 v28, v248, v250, s[78:79]                // 000000009040: D100001C 013BF5F8
	v_cmp_u_f32_e64 s[78:79], v73, v73                         // 000000009048: D048004E 00029349
	v_add3_u32 v248, v73, v251, 1                              // 000000009050: D1FF00F8 0207F749
	v_cndmask_b32_e64 v29, v248, v250, s[78:79]                // 000000009058: D100001D 013BF5F8
	v_perm_b32 v72, v29, v28, s64                              // 000000009060: D1ED0048 0102391D
	v_cmp_u_f32_e64 s[78:79], v74, v74                         // 000000009068: D048004E 0002954A
	v_add3_u32 v248, v74, v251, 1                              // 000000009070: D1FF00F8 0207F74A
	v_cndmask_b32_e64 v28, v248, v250, s[78:79]                // 000000009078: D100001C 013BF5F8
	v_cmp_u_f32_e64 s[78:79], v75, v75                         // 000000009080: D048004E 0002974B
	v_add3_u32 v248, v75, v251, 1                              // 000000009088: D1FF00F8 0207F74B
	v_cndmask_b32_e64 v29, v248, v250, s[78:79]                // 000000009090: D100001D 013BF5F8
	v_perm_b32 v73, v29, v28, s64                              // 000000009098: D1ED0049 0102391D
	v_cmp_u_f32_e64 s[78:79], v76, v76                         // 0000000090A0: D048004E 0002994C
	v_add3_u32 v248, v76, v251, 1                              // 0000000090A8: D1FF00F8 0207F74C
	v_cndmask_b32_e64 v28, v248, v250, s[78:79]                // 0000000090B0: D100001C 013BF5F8
	v_cmp_u_f32_e64 s[78:79], v77, v77                         // 0000000090B8: D048004E 00029B4D
	v_add3_u32 v248, v77, v251, 1                              // 0000000090C0: D1FF00F8 0207F74D
	v_cndmask_b32_e64 v29, v248, v250, s[78:79]                // 0000000090C8: D100001D 013BF5F8
	v_perm_b32 v74, v29, v28, s64                              // 0000000090D0: D1ED004A 0102391D
	v_mfma_f32_16x16x16_bf16 v[172:175], v[118:119], v[144:145], v[172:175]// 0000000090D8: D3E100AC 06B32176
	v_mov_b32_dpp v16, v72 quad_perm:[1,0,3,2] row_mask:0xf bank_mask:0xf// 0000000090E0: 7E2002FA FF00B148
	v_perm_b32 v48, v16, v72, v15                              // 0000000090E8: D1ED0030 043E9110
	v_mov_b32_dpp v16, v73 quad_perm:[1,0,3,2] row_mask:0xf bank_mask:0xf// 0000000090F0: 7E2002FA FF00B149
	v_mfma_f32_16x16x16_bf16 v[176:179], v[120:121], v[144:145], v[176:179]// 0000000090F8: D3E100B0 06C32178
	ds_write_b32 v18, v48 offset:17408                         // 000000009100: D81A4400 00003012
	v_mfma_f32_16x16x16_bf16 v[180:183], v[122:123], v[144:145], v[180:183]// 000000009108: D3E100B4 06D3217A
	v_perm_b32 v49, v16, v73, v15                              // 000000009110: D1ED0031 043E9310
	v_mov_b32_dpp v16, v74 quad_perm:[1,0,3,2] row_mask:0xf bank_mask:0xf// 000000009118: 7E2002FA FF00B14A
	v_perm_b32 v50, v16, v74, v15                              // 000000009120: D1ED0032 043E9510
	v_mfma_f32_16x16x16_bf16 v[184:187], v[108:109], v[146:147], v[184:187]// 000000009128: D3E100B8 06E3256C
	ds_write_b32 v18, v49 offset:17952                         // 000000009130: D81A4620 00003112
	v_mfma_f32_16x16x16_bf16 v[188:191], v[110:111], v[146:147], v[188:191]// 000000009138: D3E100BC 06F3256E
	v_subrev_f32_dpp v78, v150, v78 quad_perm:[2,2,2,2] row_mask:0xf bank_mask:0xf// 000000009140: 069C9CFA FF00AA96
	v_subrev_f32_dpp v79, v150, v79 quad_perm:[3,3,3,3] row_mask:0xf bank_mask:0xf// 000000009148: 069E9EFA FF00FF96
	v_subrev_f32_dpp v80, v150, v80 quad_perm:[0,0,0,0] row_mask:0xf bank_mask:0xf// 000000009150: 06A0A0FA FF000096
	v_mfma_f32_16x16x16_bf16 v[192:195], v[112:113], v[146:147], v[192:195]// 000000009158: D3E100C0 07032570
	ds_write_b32 v18, v50 offset:19712                         // 000000009160: D81A4D00 00003212
	v_mfma_f32_16x16x16_bf16 v[196:199], v[114:115], v[146:147], v[196:199]// 000000009168: D3E100C4 07132572
	v_subrev_f32_dpp v81, v150, v81 quad_perm:[1,1,1,1] row_mask:0xf bank_mask:0xf// 000000009170: 06A2A2FA FF005596
	v_subrev_f32_dpp v82, v150, v82 quad_perm:[2,2,2,2] row_mask:0xf bank_mask:0xf// 000000009178: 06A4A4FA FF00AA96
	v_subrev_f32_dpp v83, v150, v83 quad_perm:[3,3,3,3] row_mask:0xf bank_mask:0xf// 000000009180: 06A6A6FA FF00FF96
	v_mfma_f32_16x16x16_bf16 v[200:203], v[116:117], v[146:147], v[200:203]// 000000009188: D3E100C8 07232574
	v_mul_f32_e32 v78, v54, v78                                // 000000009190: 0A9C9D36
	v_mul_f32_e32 v79, v55, v79                                // 000000009194: 0A9E9F37
	v_mul_f32_e32 v80, v56, v80                                // 000000009198: 0AA0A138
	v_mfma_f32_16x16x16_bf16 v[204:207], v[118:119], v[146:147], v[204:207]// 00000000919C: D3E100CC 07332576
	v_mul_f32_e32 v81, v57, v81                                // 0000000091A4: 0AA2A339
	v_mul_f32_e32 v82, v58, v82                                // 0000000091A8: 0AA4A53A
	v_mul_f32_e32 v83, v59, v83                                // 0000000091AC: 0AA6A73B
	v_mfma_f32_16x16x16_bf16 v[208:211], v[120:121], v[146:147], v[208:211]// 0000000091B0: D3E100D0 07432578
	v_cmp_u_f32_e64 s[78:79], v78, v78                         // 0000000091B8: D048004E 00029D4E
	v_add3_u32 v248, v78, v251, 1                              // 0000000091C0: D1FF00F8 0207F74E
	v_cndmask_b32_e64 v28, v248, v250, s[78:79]                // 0000000091C8: D100001C 013BF5F8
	v_cmp_u_f32_e64 s[78:79], v79, v79                         // 0000000091D0: D048004E 00029F4F
	v_add3_u32 v248, v79, v251, 1                              // 0000000091D8: D1FF00F8 0207F74F
	v_cndmask_b32_e64 v29, v248, v250, s[78:79]                // 0000000091E0: D100001D 013BF5F8
	v_perm_b32 v75, v29, v28, s64                              // 0000000091E8: D1ED004B 0102391D
	v_cmp_u_f32_e64 s[78:79], v80, v80                         // 0000000091F0: D048004E 0002A150
	v_add3_u32 v248, v80, v251, 1                              // 0000000091F8: D1FF00F8 0207F750
	v_cndmask_b32_e64 v28, v248, v250, s[78:79]                // 000000009200: D100001C 013BF5F8
	v_cmp_u_f32_e64 s[78:79], v81, v81                         // 000000009208: D048004E 0002A351
	v_add3_u32 v248, v81, v251, 1                              // 000000009210: D1FF00F8 0207F751
	v_cndmask_b32_e64 v29, v248, v250, s[78:79]                // 000000009218: D100001D 013BF5F8
	v_perm_b32 v76, v29, v28, s64                              // 000000009220: D1ED004C 0102391D
	v_cmp_u_f32_e64 s[78:79], v82, v82                         // 000000009228: D048004E 0002A552
	v_add3_u32 v248, v82, v251, 1                              // 000000009230: D1FF00F8 0207F752
	v_cndmask_b32_e64 v28, v248, v250, s[78:79]                // 000000009238: D100001C 013BF5F8
	v_cmp_u_f32_e64 s[78:79], v83, v83                         // 000000009240: D048004E 0002A753
	v_add3_u32 v248, v83, v251, 1                              // 000000009248: D1FF00F8 0207F753
	v_cndmask_b32_e64 v29, v248, v250, s[78:79]                // 000000009250: D100001D 013BF5F8
	v_perm_b32 v77, v29, v28, s64                              // 000000009258: D1ED004D 0102391D
	v_mfma_f32_16x16x16_bf16 v[212:215], v[122:123], v[146:147], v[212:215]// 000000009260: D3E100D4 0753257A
	v_mov_b32_dpp v16, v75 quad_perm:[1,0,3,2] row_mask:0xf bank_mask:0xf// 000000009268: 7E2002FA FF00B14B
	v_perm_b32 v51, v16, v75, v15                              // 000000009270: D1ED0033 043E9710
	v_mov_b32_dpp v16, v76 quad_perm:[1,0,3,2] row_mask:0xf bank_mask:0xf// 000000009278: 7E2002FA FF00B14C
	v_mfma_f32_16x16x16_bf16 v[216:219], v[108:109], v[148:149], v[216:219]// 000000009280: D3E100D8 0763296C
	ds_write_b32 v18, v51 offset:20256                         // 000000009288: D81A4F20 00003312
	v_mfma_f32_16x16x16_bf16 v[220:223], v[110:111], v[148:149], v[220:223]// 000000009290: D3E100DC 0773296E
	v_perm_b32 v52, v16, v76, v15                              // 000000009298: D1ED0034 043E9910
	v_mov_b32_dpp v16, v77 quad_perm:[1,0,3,2] row_mask:0xf bank_mask:0xf// 0000000092A0: 7E2002FA FF00B14D
	v_perm_b32 v53, v16, v77, v15                              // 0000000092A8: D1ED0035 043E9B10
	v_mfma_f32_16x16x16_bf16 v[224:227], v[112:113], v[148:149], v[224:227]// 0000000092B0: D3E100E0 07832970
	ds_write_b32 v18, v52 offset:22016                         // 0000000092B8: D81A5600 00003412
	ds_write_b32 v18, v53 offset:22560                         // 0000000092C0: D81A5820 00003512
	v_mfma_f32_16x16x16_bf16 v[228:231], v[114:115], v[148:149], v[228:231]// 0000000092C8: D3E100E4 07932972
	v_mfma_f32_16x16x16_bf16 v[232:235], v[116:117], v[148:149], v[232:235]// 0000000092D0: D3E100E8 07A32974
	ds_write_b32 v13, v84 offset:4352                          // 0000000092D8: D81A1100 0000540D
	ds_write_b32 v13, v85 offset:5408                          // 0000000092E0: D81A1520 0000550D
	v_mfma_f32_16x16x16_bf16 v[236:239], v[118:119], v[148:149], v[236:239]// 0000000092E8: D3E100EC 07B32976
	v_mfma_f32_16x16x16_bf16 v[240:243], v[120:121], v[148:149], v[240:243]// 0000000092F0: D3E100F0 07C32978
	ds_write_b32 v13, v86 offset:4480                          // 0000000092F8: D81A1180 0000560D
	ds_write_b32 v13, v87 offset:5536                          // 000000009300: D81A15A0 0000570D
	v_mfma_f32_16x16x16_bf16 v[244:247], v[122:123], v[148:149], v[244:247]// 000000009308: D3E100F4 07D3297A
	s_nop 0                                                    // 000000009310: BF800000
	s_nop 0                                                    // 000000009314: BF800000
	;; [unrolled: 1-line block ×3, first 2 shown]
	s_barrier                                                  // 00000000931C: BF8A0000
	v_mfma_f32_16x16x16_bf16 a[160:163], a[144:145], v[72:73], a[160:163]// 000000009320: D3E180A0 0E829190
	ds_read_b32 v124, v21 offset:50688                         // 000000009328: D86CC600 7C000015
	ds_read_b32 v150, v21 offset:50944                         // 000000009330: D86CC700 96000015
	v_mfma_f32_16x16x16_bf16 a[164:167], a[146:147], v[72:73], a[164:167]// 000000009338: D3E180A4 0E929192
	buffer_atomic_add_f32 v136, v7, s[32:35], 0 offen          // 000000009340: E1341000 80088807
	v_mfma_f32_16x16x16_bf16 a[168:171], a[148:149], v[72:73], a[168:171]// 000000009348: D3E180A8 0EA29194
	s_waitcnt lgkmcnt(6)                                       // 000000009350: BF8CC67F
	s_barrier                                                  // 000000009354: BF8A0000
	v_mfma_f32_16x16x16_bf16 a[172:175], a[150:151], v[72:73], a[172:175]// 000000009358: D3E180AC 0EB29196
	v_mfma_f32_16x16x16_bf16 a[176:179], a[152:153], v[72:73], a[176:179]// 000000009360: D3E180B0 0EC29198
	ds_read_b128 v[48:51], v17 offset:17408                    // 000000009368: D9FE4400 30000011
	v_mfma_f32_16x16x16_bf16 a[180:183], a[154:155], v[72:73], a[180:183]// 000000009370: D3E180B4 0ED2919A
	v_mfma_f32_16x16x16_bf16 a[184:187], a[156:157], v[72:73], a[184:187]// 000000009378: D3E180B8 0EE2919C
	ds_read_b128 v[52:55], v17 offset:18560                    // 000000009380: D9FE4880 34000011
	v_mfma_f32_16x16x16_bf16 a[188:191], a[158:159], v[72:73], a[188:191]// 000000009388: D3E180BC 0EF2919E
	buffer_atomic_add_f32 v137, v8, s[32:35], 0 offen          // 000000009390: E1341000 80088908
	v_mfma_f32_16x16x16_bf16 a[192:195], a[144:145], v[74:75], a[192:195]// 000000009398: D3E180C0 0F029590
	ds_read_b128 v[56:59], v17 offset:19712                    // 0000000093A0: D9FE4D00 38000011
	v_mfma_f32_16x16x16_bf16 a[196:199], a[146:147], v[74:75], a[196:199]// 0000000093A8: D3E180C4 0F129592
	v_mfma_f32_16x16x16_bf16 a[200:203], a[148:149], v[74:75], a[200:203]// 0000000093B0: D3E180C8 0F229594
	ds_read_b128 v[60:63], v17 offset:20864                    // 0000000093B8: D9FE5180 3C000011
	v_mfma_f32_16x16x16_bf16 a[204:207], a[150:151], v[74:75], a[204:207]// 0000000093C0: D3E180CC 0F329596
	v_mfma_f32_16x16x16_bf16 a[208:211], a[152:153], v[74:75], a[208:211]// 0000000093C8: D3E180D0 0F429598
	ds_read_b128 v[64:67], v17 offset:22016                    // 0000000093D0: D9FE5600 40000011
	v_mfma_f32_16x16x16_bf16 a[212:215], a[154:155], v[74:75], a[212:215]// 0000000093D8: D3E180D4 0F52959A
	buffer_atomic_add_f32 v138, v7, s[32:35], 0 offen offset:128// 0000000093E0: E1341080 80088A07
	v_mfma_f32_16x16x16_bf16 a[216:219], a[156:157], v[74:75], a[216:219]// 0000000093E8: D3E180D8 0F62959C
	ds_read_b128 v[68:71], v17 offset:23168                    // 0000000093F0: D9FE5A80 44000011
	v_mfma_f32_16x16x16_bf16 a[220:223], a[158:159], v[74:75], a[220:223]// 0000000093F8: D3E180DC 0F72959E
	v_mfma_f32_16x16x16_bf16 a[224:227], a[144:145], v[76:77], a[224:227]// 000000009400: D3E180E0 0F829990
	ds_write_b32 v13, v88 offset:13056                         // 000000009408: D81A3300 0000580D
	v_mfma_f32_16x16x16_bf16 a[228:231], a[146:147], v[76:77], a[228:231]// 000000009410: D3E180E4 0F929992
	v_mfma_f32_16x16x16_bf16 a[232:235], a[148:149], v[76:77], a[232:235]// 000000009418: D3E180E8 0FA29994
	ds_write_b32 v13, v89 offset:14112                         // 000000009420: D81A3720 0000590D
	v_mfma_f32_16x16x16_bf16 a[236:239], a[150:151], v[76:77], a[236:239]// 000000009428: D3E180EC 0FB29996
	buffer_atomic_add_f32 v139, v8, s[32:35], 0 offen offset:128// 000000009430: E1341080 80088B08
	v_mfma_f32_16x16x16_bf16 a[240:243], a[152:153], v[76:77], a[240:243]// 000000009438: D3E180F0 0FC29998
	ds_write_b32 v13, v90 offset:13184                         // 000000009440: D81A3380 00005A0D
	v_mfma_f32_16x16x16_bf16 a[244:247], a[154:155], v[76:77], a[244:247]// 000000009448: D3E180F4 0FD2999A
	v_mfma_f32_16x16x16_bf16 a[248:251], a[156:157], v[76:77], a[248:251]// 000000009450: D3E180F8 0FE2999C
	ds_write_b32 v13, v91 offset:14240                         // 000000009458: D81A37A0 00005B0D
	v_mfma_f32_16x16x16_bf16 a[252:255], a[158:159], v[76:77], a[252:255]// 000000009460: D3E180FC 0FF2999E
	s_waitcnt vmcnt(8) lgkmcnt(4)                              // 000000009468: BF8C0478
	s_barrier                                                  // 00000000946C: BF8A0000
	v_mfma_f32_16x16x16_bf16 v[128:131], v[48:49], a[48:49], 0 // 000000009470: D3E10080 12026130
	ds_read_b128 a[144:147], v10                               // 000000009478: DBFE0000 9000000A
	buffer_load_dword v32, v1, s[8:11], 0 idxen                // 000000009480: E0502000 80022001
	v_mfma_f32_16x16x16_bf16 v[128:131], v[50:51], a[52:53], v[128:131]// 000000009488: D3E10080 16026932
	v_mul_f32_e32 v124, s48, v124                              // 000000009490: 0AF8F830
	s_nop 0                                                    // 000000009494: BF800000
	v_mfma_f32_16x16x16_bf16 v[128:131], v[52:53], a[56:57], v[128:131]// 000000009498: D3E10080 16027134
	ds_read_b128 a[148:151], v10 offset:512                    // 0000000094A0: DBFE0200 9400000A
	buffer_load_dword v33, v2, s[8:11], 0 idxen                // 0000000094A8: E0502000 80022102
	v_mfma_f32_16x16x16_bf16 v[128:131], v[54:55], a[60:61], v[128:131]// 0000000094B0: D3E10080 16027936
	v_mfma_f32_16x16x16_bf16 v[128:131], v[56:57], a[64:65], v[128:131]// 0000000094B8: D3E10080 16028138
	ds_read_b128 a[152:155], v10 offset:2176                   // 0000000094C0: DBFE0880 9800000A
	buffer_load_dword v34, v3, s[8:11], 0 idxen                // 0000000094C8: E0502000 80022203
	v_mfma_f32_16x16x16_bf16 v[128:131], v[58:59], a[68:69], v[128:131]// 0000000094D0: D3E10080 1602893A
	v_perm_b32 v84, v37, v36, s63                              // 0000000094D8: D1ED0054 00FE4925
	v_perm_b32 v85, v37, v36, s64                              // 0000000094E0: D1ED0055 01024925
	v_mfma_f32_16x16x16_bf16 v[128:131], v[60:61], a[72:73], v[128:131]// 0000000094E8: D3E10080 1602913C
	ds_read_b128 a[156:159], v10 offset:2688                   // 0000000094F0: DBFE0A80 9C00000A
	buffer_load_dword v35, v4, s[8:11], 0 idxen                // 0000000094F8: E0502000 80022304
	v_mfma_f32_16x16x16_bf16 v[128:131], v[62:63], a[76:77], v[128:131]// 000000009500: D3E10080 1602993E
	v_perm_b32 v86, v39, v38, s63                              // 000000009508: D1ED0056 00FE4D27
	v_perm_b32 v87, v39, v38, s64                              // 000000009510: D1ED0057 01024D27
	v_mfma_f32_16x16x16_bf16 v[128:131], v[64:65], a[80:81], v[128:131]// 000000009518: D3E10080 1602A140
	ds_read_b128 v[92:95], v10 offset:8704                     // 000000009520: D9FE2200 5C00000A
	buffer_load_dword v40, v252, s[20:23], 0 idxen             // 000000009528: E0502000 800528FC
	v_mfma_f32_16x16x16_bf16 v[128:131], v[66:67], a[84:85], v[128:131]// 000000009530: D3E10080 1602A942
	v_perm_b32 v88, v45, v44, s63                              // 000000009538: D1ED0058 00FE592D
	v_perm_b32 v89, v45, v44, s64                              // 000000009540: D1ED0059 0102592D
	v_mfma_f32_16x16x16_bf16 v[128:131], v[68:69], a[88:89], v[128:131]// 000000009548: D3E10080 1602B144
	ds_read_b128 v[96:99], v10 offset:9216                     // 000000009550: D9FE2400 6000000A
	buffer_load_dword v41, v253, s[20:23], 0 idxen             // 000000009558: E0502000 800529FD
	v_mfma_f32_16x16x16_bf16 v[128:131], v[70:71], a[92:93], v[128:131]// 000000009560: D3E10080 1602B946
	v_perm_b32 v90, v47, v46, s63                              // 000000009568: D1ED005A 00FE5D2F
	v_perm_b32 v91, v47, v46, s64                              // 000000009570: D1ED005B 01025D2F
	v_mfma_f32_16x16x16_bf16 v[132:135], v[48:49], a[50:51], 0 // 000000009578: D3E10084 12026530
	ds_read_b128 v[100:103], v10 offset:10880                  // 000000009580: D9FE2A80 6400000A
	buffer_load_dword v42, v254, s[20:23], 0 idxen             // 000000009588: E0502000 80052AFE
	v_mfma_f32_16x16x16_bf16 v[132:135], v[50:51], a[54:55], v[132:135]// 000000009590: D3E10084 16126D32
	v_mov_b32_dpp v127, v124 quad_perm:[3,3,3,3] row_mask:0xf bank_mask:0xf// 000000009598: 7EFE02FA FF00FF7C
	v_mov_b32_dpp v126, v124 quad_perm:[2,2,2,2] row_mask:0xf bank_mask:0xf// 0000000095A0: 7EFC02FA FF00AA7C
	v_mfma_f32_16x16x16_bf16 v[132:135], v[52:53], a[58:59], v[132:135]// 0000000095A8: D3E10084 16127534
	ds_read_b128 v[104:107], v10 offset:11392                  // 0000000095B0: D9FE2C80 6800000A
	buffer_load_dword v43, v255, s[20:23], 0 idxen             // 0000000095B8: E0502000 80052BFF
	v_mfma_f32_16x16x16_bf16 v[132:135], v[54:55], a[62:63], v[132:135]// 0000000095C0: D3E10084 16127D36
	v_mov_b32_dpp v125, v124 quad_perm:[1,1,1,1] row_mask:0xf bank_mask:0xf// 0000000095C8: 7EFA02FA FF00557C
	v_mov_b32_dpp v124, v124 quad_perm:[0,0,0,0] row_mask:0xf bank_mask:0xf// 0000000095D0: 7EF802FA FF00007C
	s_add_u32 s60, 64, s59                                     // 0000000095D8: 803C3BC0
	v_mfma_f32_16x16x16_bf16 v[132:135], v[56:57], a[66:67], v[132:135]// 0000000095DC: D3E10084 16128538
	buffer_load_dword v9, s[24:27], 0 idxen lds                // 0000000095E4: E0512000 80060009
	v_mfma_f32_16x16x16_bf16 v[132:135], v[58:59], a[70:71], v[132:135]// 0000000095EC: D3E10084 16128D3A
	s_cmp_lt_u32 s60, s58                                      // 0000000095F4: BF0A3A3C
	s_cselect_b32 s68, s68, 0                                  // 0000000095F8: 85448044
	s_cselect_b32 s100, s100, 0                                // 0000000095FC: 85648064
	s_cselect_b32 s69, s69, 0                                  // 000000009600: 85458045
	v_mfma_f32_16x16x16_bf16 v[132:135], v[60:61], a[74:75], v[132:135]// 000000009604: D3E10084 1612953C
	v_add_u32_e32 v1, s68, v1                                  // 00000000960C: 68020244
	v_add_u32_e32 v2, s68, v2                                  // 000000009610: 68040444
	v_add_u32_e32 v3, s68, v3                                  // 000000009614: 68060644
	;; [unrolled: 1-line block ×3, first 2 shown]
	v_mfma_f32_16x16x16_bf16 v[132:135], v[62:63], a[78:79], v[132:135]// 00000000961C: D3E10084 16129D3E
	v_add_u32_e32 v252, s100, v252                             // 000000009624: 69F9F864
	v_add_u32_e32 v253, s100, v253                             // 000000009628: 69FBFA64
	v_add_u32_e32 v254, s100, v254                             // 00000000962C: 69FDFC64
	v_add_u32_e32 v255, s100, v255                             // 000000009630: 69FFFE64
	v_mfma_f32_16x16x16_bf16 v[132:135], v[64:65], a[82:83], v[132:135]// 000000009634: D3E10084 1612A540
	s_mov_b32 m0, s81                                          // 00000000963C: BEFC0051
	v_add_u32_e32 v9, s69, v9                                  // 000000009640: 68121245
	v_mfma_f32_16x16x16_bf16 v[132:135], v[66:67], a[86:87], v[132:135]// 000000009644: D3E10084 1612AD42
	s_cmp_ge_u32 s59, s73                                      // 00000000964C: BF09493B
	s_cselect_b32 s66, s67, s66                                // 000000009650: 85424243
	v_mfma_f32_16x16x16_bf16 v[132:135], v[68:69], a[90:91], v[132:135]// 000000009654: D3E10084 1612B544
	s_addk_i32 s59, 0x10                                       // 00000000965C: B73B0010
	s_nop 0                                                    // 000000009660: BF800000
	s_cmp_lt_i32 s59, s58                                      // 000000009664: BF043A3B
	v_mfma_f32_16x16x16_bf16 v[132:135], v[70:71], a[94:95], v[132:135]// 000000009668: D3E10084 1612BD46
	s_cbranch_scc0 label_0F66                                  // 000000009670: BF84F93F
	s_branch label_0F69                                        // 000000009674: BF82F941

0000000000009678 <label_1632>:
	buffer_atomic_add_f32 v140, v7, s[32:35], 0 offen offset:256// 000000009678: E1341100 80088C07
	buffer_atomic_add_f32 v141, v8, s[32:35], 0 offen offset:256// 000000009680: E1341100 80088D08
	buffer_atomic_add_f32 v142, v7, s[32:35], 0 offen offset:384// 000000009688: E1341180 80088E07
	buffer_atomic_add_f32 v143, v8, s[32:35], 0 offen offset:384// 000000009690: E1341180 80088F08
	v_add_u32_e32 v7, s66, v7                                  // 000000009698: 680E0E42
	v_add_u32_e32 v8, s66, v8                                  // 00000000969C: 68101042
	v_lshrrev_b32_e32 v28, 5, v0                               // 0000000096A0: 20380085
	v_mul_i32_i24_e32 v25, 0x42, v28                           // 0000000096A4: 0C3238FF 00000042
	v_and_b32_e32 v28, 31, v0                                  // 0000000096AC: 2638009F
	v_mul_i32_i24_e32 v29, 2, v28                              // 0000000096B0: 0C3A3882
	v_add_u32_e32 v25, v29, v25                                // 0000000096B4: 6832331D
	s_mul_i32 s60, s46, 0x420                                  // 0000000096B8: 923CFF2E 00000420
	v_add_u32_e32 v25, s60, v25                                // 0000000096C0: 6832323C
	v_lshlrev_b32_e32 v25, 2, v25                              // 0000000096C4: 24323282
	v_mul_f32_e32 v128, s47, v128                              // 0000000096C8: 0B01002F
	v_mul_f32_e32 v129, s47, v129                              // 0000000096CC: 0B03022F
	v_mul_f32_e32 v130, s47, v130                              // 0000000096D0: 0B05042F
	v_mul_f32_e32 v131, s47, v131                              // 0000000096D4: 0B07062F
	v_mul_f32_e32 v132, s47, v132                              // 0000000096D8: 0B09082F
	v_mul_f32_e32 v133, s47, v133                              // 0000000096DC: 0B0B0A2F
	v_mul_f32_e32 v134, s47, v134                              // 0000000096E0: 0B0D0C2F
	v_mul_f32_e32 v135, s47, v135                              // 0000000096E4: 0B0F0E2F
	ds_write_b64 v20, v[128:129] offset:24320                  // 0000000096E8: D89A5F00 00008014
	ds_write_b64 v20, v[130:131] offset:24832                  // 0000000096F0: D89A6100 00008214
	ds_write_b64 v20, v[132:133] offset:25344                  // 0000000096F8: D89A6300 00008414
	ds_write_b64 v20, v[134:135] offset:25856                  // 000000009700: D89A6500 00008614
	s_waitcnt lgkmcnt(0)                                       // 000000009708: BF8CC07F
	s_barrier                                                  // 00000000970C: BF8A0000
	ds_read_b64 v[136:137], v19 offset:24320                   // 000000009710: D8EC5F00 88000013
	ds_read_b64 v[138:139], v19 offset:26368                   // 000000009718: D8EC6700 8A000013
	ds_read_b64 v[140:141], v19 offset:28416                   // 000000009720: D8EC6F00 8C000013
	ds_read_b64 v[142:143], v19 offset:30464                   // 000000009728: D8EC7700 8E000013
	s_waitcnt lgkmcnt(0)                                       // 000000009730: BF8CC07F
	s_barrier                                                  // 000000009734: BF8A0000
	buffer_atomic_add_f32 v136, v7, s[32:35], 0 offen          // 000000009738: E1341000 80088807
	buffer_atomic_add_f32 v137, v8, s[32:35], 0 offen          // 000000009740: E1341000 80088908
	buffer_atomic_add_f32 v138, v7, s[32:35], 0 offen offset:128// 000000009748: E1341080 80088A07
	buffer_atomic_add_f32 v139, v8, s[32:35], 0 offen offset:128// 000000009750: E1341080 80088B08
	buffer_atomic_add_f32 v140, v7, s[32:35], 0 offen offset:256// 000000009758: E1341100 80088C07
	buffer_atomic_add_f32 v141, v8, s[32:35], 0 offen offset:256// 000000009760: E1341100 80088D08
	buffer_atomic_add_f32 v142, v7, s[32:35], 0 offen offset:384// 000000009768: E1341180 80088E07
	buffer_atomic_add_f32 v143, v8, s[32:35], 0 offen offset:384// 000000009770: E1341180 80088F08
	v_lshrrev_b32_e32 v28, 4, v0                               // 000000009778: 20380084
	v_mul_i32_i24_e32 v24, 2, v28                              // 00000000977C: 0C303882
	v_and_b32_e32 v28, 15, v0                                  // 000000009780: 2638008F
	v_mul_i32_i24_e32 v29, 0x42, v28                           // 000000009784: 0C3A38FF 00000042
	v_add_u32_e32 v24, v29, v24                                // 00000000978C: 6830311D
	s_mul_i32 s60, s46, 0x420                                  // 000000009790: 923CFF2E 00000420
	v_add_u32_e32 v24, s60, v24                                // 000000009798: 6830303C
	v_lshlrev_b32_e32 v24, 2, v24                              // 00000000979C: 24303082
	v_accvgpr_read_b32 v30, a160                               // 0000000097A0: D3D8401E 180001A0
	v_accvgpr_read_b32 v31, a161                               // 0000000097A8: D3D8401F 180001A1
	v_mul_f32_e32 v30, s47, v30                                // 0000000097B0: 0A3C3C2F
	v_mul_f32_e32 v31, s47, v31                                // 0000000097B4: 0A3E3E2F
	v_cmp_u_f32_e64 s[78:79], v30, v30                         // 0000000097B8: D048004E 00023D1E
	v_bfe_u32 v248, v30, 16, 1                                 // 0000000097C0: D1C800F8 0205211E
	v_add3_u32 v248, v30, v248, v251                           // 0000000097C8: D1FF00F8 07EFF11E
	v_cndmask_b32_e64 v28, v248, v250, s[78:79]                // 0000000097D0: D100001C 013BF5F8
	v_lshrrev_b32_e32 v28, 16, v28                             // 0000000097D8: 20383890
	v_cmp_u_f32_e64 s[78:79], v31, v31                         // 0000000097DC: D048004E 00023F1F
	v_bfe_u32 v248, v31, 16, 1                                 // 0000000097E4: D1C800F8 0205211F
	v_add3_u32 v248, v31, v248, v251                           // 0000000097EC: D1FF00F8 07EFF11F
	v_cndmask_b32_e64 v29, v248, v250, s[78:79]                // 0000000097F4: D100001D 013BF5F8
	v_and_or_b32 v48, v29, v249, v28                           // 0000000097FC: D2010030 0473F31D
	v_accvgpr_read_b32 v30, a162                               // 000000009804: D3D8401E 180001A2
	v_accvgpr_read_b32 v31, a163                               // 00000000980C: D3D8401F 180001A3
	v_mul_f32_e32 v30, s47, v30                                // 000000009814: 0A3C3C2F
	v_mul_f32_e32 v31, s47, v31                                // 000000009818: 0A3E3E2F
	v_cmp_u_f32_e64 s[78:79], v30, v30                         // 00000000981C: D048004E 00023D1E
	v_bfe_u32 v248, v30, 16, 1                                 // 000000009824: D1C800F8 0205211E
	v_add3_u32 v248, v30, v248, v251                           // 00000000982C: D1FF00F8 07EFF11E
	v_cndmask_b32_e64 v28, v248, v250, s[78:79]                // 000000009834: D100001C 013BF5F8
	v_lshrrev_b32_e32 v28, 16, v28                             // 00000000983C: 20383890
	v_cmp_u_f32_e64 s[78:79], v31, v31                         // 000000009840: D048004E 00023F1F
	v_bfe_u32 v248, v31, 16, 1                                 // 000000009848: D1C800F8 0205211F
	v_add3_u32 v248, v31, v248, v251                           // 000000009850: D1FF00F8 07EFF11F
	v_cndmask_b32_e64 v29, v248, v250, s[78:79]                // 000000009858: D100001D 013BF5F8
	v_and_or_b32 v49, v29, v249, v28                           // 000000009860: D2010031 0473F31D
	v_accvgpr_read_b32 v30, a164                               // 000000009868: D3D8401E 180001A4
	v_accvgpr_read_b32 v31, a165                               // 000000009870: D3D8401F 180001A5
	v_mul_f32_e32 v30, s47, v30                                // 000000009878: 0A3C3C2F
	v_mul_f32_e32 v31, s47, v31                                // 00000000987C: 0A3E3E2F
	v_cmp_u_f32_e64 s[78:79], v30, v30                         // 000000009880: D048004E 00023D1E
	v_bfe_u32 v248, v30, 16, 1                                 // 000000009888: D1C800F8 0205211E
	v_add3_u32 v248, v30, v248, v251                           // 000000009890: D1FF00F8 07EFF11E
	v_cndmask_b32_e64 v28, v248, v250, s[78:79]                // 000000009898: D100001C 013BF5F8
	v_lshrrev_b32_e32 v28, 16, v28                             // 0000000098A0: 20383890
	v_cmp_u_f32_e64 s[78:79], v31, v31                         // 0000000098A4: D048004E 00023F1F
	v_bfe_u32 v248, v31, 16, 1                                 // 0000000098AC: D1C800F8 0205211F
	v_add3_u32 v248, v31, v248, v251                           // 0000000098B4: D1FF00F8 07EFF11F
	v_cndmask_b32_e64 v29, v248, v250, s[78:79]                // 0000000098BC: D100001D 013BF5F8
	v_and_or_b32 v50, v29, v249, v28                           // 0000000098C4: D2010032 0473F31D
	v_accvgpr_read_b32 v30, a166                               // 0000000098CC: D3D8401E 180001A6
	v_accvgpr_read_b32 v31, a167                               // 0000000098D4: D3D8401F 180001A7
	v_mul_f32_e32 v30, s47, v30                                // 0000000098DC: 0A3C3C2F
	v_mul_f32_e32 v31, s47, v31                                // 0000000098E0: 0A3E3E2F
	v_cmp_u_f32_e64 s[78:79], v30, v30                         // 0000000098E4: D048004E 00023D1E
	v_bfe_u32 v248, v30, 16, 1                                 // 0000000098EC: D1C800F8 0205211E
	v_add3_u32 v248, v30, v248, v251                           // 0000000098F4: D1FF00F8 07EFF11E
	v_cndmask_b32_e64 v28, v248, v250, s[78:79]                // 0000000098FC: D100001C 013BF5F8
	v_lshrrev_b32_e32 v28, 16, v28                             // 000000009904: 20383890
	v_cmp_u_f32_e64 s[78:79], v31, v31                         // 000000009908: D048004E 00023F1F
	v_bfe_u32 v248, v31, 16, 1                                 // 000000009910: D1C800F8 0205211F
	v_add3_u32 v248, v31, v248, v251                           // 000000009918: D1FF00F8 07EFF11F
	v_cndmask_b32_e64 v29, v248, v250, s[78:79]                // 000000009920: D100001D 013BF5F8
	v_and_or_b32 v51, v29, v249, v28                           // 000000009928: D2010033 0473F31D
	v_accvgpr_read_b32 v30, a168                               // 000000009930: D3D8401E 180001A8
	v_accvgpr_read_b32 v31, a169                               // 000000009938: D3D8401F 180001A9
	v_mul_f32_e32 v30, s47, v30                                // 000000009940: 0A3C3C2F
	v_mul_f32_e32 v31, s47, v31                                // 000000009944: 0A3E3E2F
	v_cmp_u_f32_e64 s[78:79], v30, v30                         // 000000009948: D048004E 00023D1E
	v_bfe_u32 v248, v30, 16, 1                                 // 000000009950: D1C800F8 0205211E
	v_add3_u32 v248, v30, v248, v251                           // 000000009958: D1FF00F8 07EFF11E
	v_cndmask_b32_e64 v28, v248, v250, s[78:79]                // 000000009960: D100001C 013BF5F8
	v_lshrrev_b32_e32 v28, 16, v28                             // 000000009968: 20383890
	v_cmp_u_f32_e64 s[78:79], v31, v31                         // 00000000996C: D048004E 00023F1F
	v_bfe_u32 v248, v31, 16, 1                                 // 000000009974: D1C800F8 0205211F
	v_add3_u32 v248, v31, v248, v251                           // 00000000997C: D1FF00F8 07EFF11F
	v_cndmask_b32_e64 v29, v248, v250, s[78:79]                // 000000009984: D100001D 013BF5F8
	v_and_or_b32 v52, v29, v249, v28                           // 00000000998C: D2010034 0473F31D
	v_accvgpr_read_b32 v30, a170                               // 000000009994: D3D8401E 180001AA
	v_accvgpr_read_b32 v31, a171                               // 00000000999C: D3D8401F 180001AB
	v_mul_f32_e32 v30, s47, v30                                // 0000000099A4: 0A3C3C2F
	v_mul_f32_e32 v31, s47, v31                                // 0000000099A8: 0A3E3E2F
	v_cmp_u_f32_e64 s[78:79], v30, v30                         // 0000000099AC: D048004E 00023D1E
	v_bfe_u32 v248, v30, 16, 1                                 // 0000000099B4: D1C800F8 0205211E
	v_add3_u32 v248, v30, v248, v251                           // 0000000099BC: D1FF00F8 07EFF11E
	v_cndmask_b32_e64 v28, v248, v250, s[78:79]                // 0000000099C4: D100001C 013BF5F8
	v_lshrrev_b32_e32 v28, 16, v28                             // 0000000099CC: 20383890
	v_cmp_u_f32_e64 s[78:79], v31, v31                         // 0000000099D0: D048004E 00023F1F
	v_bfe_u32 v248, v31, 16, 1                                 // 0000000099D8: D1C800F8 0205211F
	v_add3_u32 v248, v31, v248, v251                           // 0000000099E0: D1FF00F8 07EFF11F
	v_cndmask_b32_e64 v29, v248, v250, s[78:79]                // 0000000099E8: D100001D 013BF5F8
	v_and_or_b32 v53, v29, v249, v28                           // 0000000099F0: D2010035 0473F31D
	v_accvgpr_read_b32 v30, a172                               // 0000000099F8: D3D8401E 180001AC
	v_accvgpr_read_b32 v31, a173                               // 000000009A00: D3D8401F 180001AD
	v_mul_f32_e32 v30, s47, v30                                // 000000009A08: 0A3C3C2F
	v_mul_f32_e32 v31, s47, v31                                // 000000009A0C: 0A3E3E2F
	v_cmp_u_f32_e64 s[78:79], v30, v30                         // 000000009A10: D048004E 00023D1E
	v_bfe_u32 v248, v30, 16, 1                                 // 000000009A18: D1C800F8 0205211E
	v_add3_u32 v248, v30, v248, v251                           // 000000009A20: D1FF00F8 07EFF11E
	v_cndmask_b32_e64 v28, v248, v250, s[78:79]                // 000000009A28: D100001C 013BF5F8
	v_lshrrev_b32_e32 v28, 16, v28                             // 000000009A30: 20383890
	v_cmp_u_f32_e64 s[78:79], v31, v31                         // 000000009A34: D048004E 00023F1F
	v_bfe_u32 v248, v31, 16, 1                                 // 000000009A3C: D1C800F8 0205211F
	v_add3_u32 v248, v31, v248, v251                           // 000000009A44: D1FF00F8 07EFF11F
	v_cndmask_b32_e64 v29, v248, v250, s[78:79]                // 000000009A4C: D100001D 013BF5F8
	v_and_or_b32 v54, v29, v249, v28                           // 000000009A54: D2010036 0473F31D
	v_accvgpr_read_b32 v30, a174                               // 000000009A5C: D3D8401E 180001AE
	v_accvgpr_read_b32 v31, a175                               // 000000009A64: D3D8401F 180001AF
	v_mul_f32_e32 v30, s47, v30                                // 000000009A6C: 0A3C3C2F
	v_mul_f32_e32 v31, s47, v31                                // 000000009A70: 0A3E3E2F
	v_cmp_u_f32_e64 s[78:79], v30, v30                         // 000000009A74: D048004E 00023D1E
	v_bfe_u32 v248, v30, 16, 1                                 // 000000009A7C: D1C800F8 0205211E
	v_add3_u32 v248, v30, v248, v251                           // 000000009A84: D1FF00F8 07EFF11E
	v_cndmask_b32_e64 v28, v248, v250, s[78:79]                // 000000009A8C: D100001C 013BF5F8
	v_lshrrev_b32_e32 v28, 16, v28                             // 000000009A94: 20383890
	v_cmp_u_f32_e64 s[78:79], v31, v31                         // 000000009A98: D048004E 00023F1F
	v_bfe_u32 v248, v31, 16, 1                                 // 000000009AA0: D1C800F8 0205211F
	v_add3_u32 v248, v31, v248, v251                           // 000000009AA8: D1FF00F8 07EFF11F
	v_cndmask_b32_e64 v29, v248, v250, s[78:79]                // 000000009AB0: D100001D 013BF5F8
	v_and_or_b32 v55, v29, v249, v28                           // 000000009AB8: D2010037 0473F31D
	v_accvgpr_read_b32 v30, a176                               // 000000009AC0: D3D8401E 180001B0
	v_accvgpr_read_b32 v31, a177                               // 000000009AC8: D3D8401F 180001B1
	v_mul_f32_e32 v30, s47, v30                                // 000000009AD0: 0A3C3C2F
	v_mul_f32_e32 v31, s47, v31                                // 000000009AD4: 0A3E3E2F
	v_cmp_u_f32_e64 s[78:79], v30, v30                         // 000000009AD8: D048004E 00023D1E
	v_bfe_u32 v248, v30, 16, 1                                 // 000000009AE0: D1C800F8 0205211E
	v_add3_u32 v248, v30, v248, v251                           // 000000009AE8: D1FF00F8 07EFF11E
	v_cndmask_b32_e64 v28, v248, v250, s[78:79]                // 000000009AF0: D100001C 013BF5F8
	v_lshrrev_b32_e32 v28, 16, v28                             // 000000009AF8: 20383890
	v_cmp_u_f32_e64 s[78:79], v31, v31                         // 000000009AFC: D048004E 00023F1F
	v_bfe_u32 v248, v31, 16, 1                                 // 000000009B04: D1C800F8 0205211F
	v_add3_u32 v248, v31, v248, v251                           // 000000009B0C: D1FF00F8 07EFF11F
	v_cndmask_b32_e64 v29, v248, v250, s[78:79]                // 000000009B14: D100001D 013BF5F8
	v_and_or_b32 v56, v29, v249, v28                           // 000000009B1C: D2010038 0473F31D
	v_accvgpr_read_b32 v30, a178                               // 000000009B24: D3D8401E 180001B2
	v_accvgpr_read_b32 v31, a179                               // 000000009B2C: D3D8401F 180001B3
	v_mul_f32_e32 v30, s47, v30                                // 000000009B34: 0A3C3C2F
	v_mul_f32_e32 v31, s47, v31                                // 000000009B38: 0A3E3E2F
	v_cmp_u_f32_e64 s[78:79], v30, v30                         // 000000009B3C: D048004E 00023D1E
	v_bfe_u32 v248, v30, 16, 1                                 // 000000009B44: D1C800F8 0205211E
	v_add3_u32 v248, v30, v248, v251                           // 000000009B4C: D1FF00F8 07EFF11E
	v_cndmask_b32_e64 v28, v248, v250, s[78:79]                // 000000009B54: D100001C 013BF5F8
	v_lshrrev_b32_e32 v28, 16, v28                             // 000000009B5C: 20383890
	v_cmp_u_f32_e64 s[78:79], v31, v31                         // 000000009B60: D048004E 00023F1F
	v_bfe_u32 v248, v31, 16, 1                                 // 000000009B68: D1C800F8 0205211F
	v_add3_u32 v248, v31, v248, v251                           // 000000009B70: D1FF00F8 07EFF11F
	v_cndmask_b32_e64 v29, v248, v250, s[78:79]                // 000000009B78: D100001D 013BF5F8
	v_and_or_b32 v57, v29, v249, v28                           // 000000009B80: D2010039 0473F31D
	v_accvgpr_read_b32 v30, a180                               // 000000009B88: D3D8401E 180001B4
	v_accvgpr_read_b32 v31, a181                               // 000000009B90: D3D8401F 180001B5
	v_mul_f32_e32 v30, s47, v30                                // 000000009B98: 0A3C3C2F
	v_mul_f32_e32 v31, s47, v31                                // 000000009B9C: 0A3E3E2F
	v_cmp_u_f32_e64 s[78:79], v30, v30                         // 000000009BA0: D048004E 00023D1E
	v_bfe_u32 v248, v30, 16, 1                                 // 000000009BA8: D1C800F8 0205211E
	v_add3_u32 v248, v30, v248, v251                           // 000000009BB0: D1FF00F8 07EFF11E
	v_cndmask_b32_e64 v28, v248, v250, s[78:79]                // 000000009BB8: D100001C 013BF5F8
	v_lshrrev_b32_e32 v28, 16, v28                             // 000000009BC0: 20383890
	v_cmp_u_f32_e64 s[78:79], v31, v31                         // 000000009BC4: D048004E 00023F1F
	v_bfe_u32 v248, v31, 16, 1                                 // 000000009BCC: D1C800F8 0205211F
	v_add3_u32 v248, v31, v248, v251                           // 000000009BD4: D1FF00F8 07EFF11F
	v_cndmask_b32_e64 v29, v248, v250, s[78:79]                // 000000009BDC: D100001D 013BF5F8
	v_and_or_b32 v58, v29, v249, v28                           // 000000009BE4: D201003A 0473F31D
	v_accvgpr_read_b32 v30, a182                               // 000000009BEC: D3D8401E 180001B6
	v_accvgpr_read_b32 v31, a183                               // 000000009BF4: D3D8401F 180001B7
	v_mul_f32_e32 v30, s47, v30                                // 000000009BFC: 0A3C3C2F
	v_mul_f32_e32 v31, s47, v31                                // 000000009C00: 0A3E3E2F
	v_cmp_u_f32_e64 s[78:79], v30, v30                         // 000000009C04: D048004E 00023D1E
	v_bfe_u32 v248, v30, 16, 1                                 // 000000009C0C: D1C800F8 0205211E
	v_add3_u32 v248, v30, v248, v251                           // 000000009C14: D1FF00F8 07EFF11E
	v_cndmask_b32_e64 v28, v248, v250, s[78:79]                // 000000009C1C: D100001C 013BF5F8
	v_lshrrev_b32_e32 v28, 16, v28                             // 000000009C24: 20383890
	v_cmp_u_f32_e64 s[78:79], v31, v31                         // 000000009C28: D048004E 00023F1F
	v_bfe_u32 v248, v31, 16, 1                                 // 000000009C30: D1C800F8 0205211F
	v_add3_u32 v248, v31, v248, v251                           // 000000009C38: D1FF00F8 07EFF11F
	v_cndmask_b32_e64 v29, v248, v250, s[78:79]                // 000000009C40: D100001D 013BF5F8
	v_and_or_b32 v59, v29, v249, v28                           // 000000009C48: D201003B 0473F31D
	v_accvgpr_read_b32 v30, a184                               // 000000009C50: D3D8401E 180001B8
	v_accvgpr_read_b32 v31, a185                               // 000000009C58: D3D8401F 180001B9
	v_mul_f32_e32 v30, s47, v30                                // 000000009C60: 0A3C3C2F
	v_mul_f32_e32 v31, s47, v31                                // 000000009C64: 0A3E3E2F
	v_cmp_u_f32_e64 s[78:79], v30, v30                         // 000000009C68: D048004E 00023D1E
	v_bfe_u32 v248, v30, 16, 1                                 // 000000009C70: D1C800F8 0205211E
	v_add3_u32 v248, v30, v248, v251                           // 000000009C78: D1FF00F8 07EFF11E
	v_cndmask_b32_e64 v28, v248, v250, s[78:79]                // 000000009C80: D100001C 013BF5F8
	v_lshrrev_b32_e32 v28, 16, v28                             // 000000009C88: 20383890
	v_cmp_u_f32_e64 s[78:79], v31, v31                         // 000000009C8C: D048004E 00023F1F
	v_bfe_u32 v248, v31, 16, 1                                 // 000000009C94: D1C800F8 0205211F
	v_add3_u32 v248, v31, v248, v251                           // 000000009C9C: D1FF00F8 07EFF11F
	v_cndmask_b32_e64 v29, v248, v250, s[78:79]                // 000000009CA4: D100001D 013BF5F8
	v_and_or_b32 v60, v29, v249, v28                           // 000000009CAC: D201003C 0473F31D
	v_accvgpr_read_b32 v30, a186                               // 000000009CB4: D3D8401E 180001BA
	v_accvgpr_read_b32 v31, a187                               // 000000009CBC: D3D8401F 180001BB
	v_mul_f32_e32 v30, s47, v30                                // 000000009CC4: 0A3C3C2F
	v_mul_f32_e32 v31, s47, v31                                // 000000009CC8: 0A3E3E2F
	v_cmp_u_f32_e64 s[78:79], v30, v30                         // 000000009CCC: D048004E 00023D1E
	v_bfe_u32 v248, v30, 16, 1                                 // 000000009CD4: D1C800F8 0205211E
	v_add3_u32 v248, v30, v248, v251                           // 000000009CDC: D1FF00F8 07EFF11E
	v_cndmask_b32_e64 v28, v248, v250, s[78:79]                // 000000009CE4: D100001C 013BF5F8
	v_lshrrev_b32_e32 v28, 16, v28                             // 000000009CEC: 20383890
	v_cmp_u_f32_e64 s[78:79], v31, v31                         // 000000009CF0: D048004E 00023F1F
	v_bfe_u32 v248, v31, 16, 1                                 // 000000009CF8: D1C800F8 0205211F
	v_add3_u32 v248, v31, v248, v251                           // 000000009D00: D1FF00F8 07EFF11F
	v_cndmask_b32_e64 v29, v248, v250, s[78:79]                // 000000009D08: D100001D 013BF5F8
	v_and_or_b32 v61, v29, v249, v28                           // 000000009D10: D201003D 0473F31D
	v_accvgpr_read_b32 v30, a188                               // 000000009D18: D3D8401E 180001BC
	v_accvgpr_read_b32 v31, a189                               // 000000009D20: D3D8401F 180001BD
	v_mul_f32_e32 v30, s47, v30                                // 000000009D28: 0A3C3C2F
	v_mul_f32_e32 v31, s47, v31                                // 000000009D2C: 0A3E3E2F
	v_cmp_u_f32_e64 s[78:79], v30, v30                         // 000000009D30: D048004E 00023D1E
	v_bfe_u32 v248, v30, 16, 1                                 // 000000009D38: D1C800F8 0205211E
	v_add3_u32 v248, v30, v248, v251                           // 000000009D40: D1FF00F8 07EFF11E
	v_cndmask_b32_e64 v28, v248, v250, s[78:79]                // 000000009D48: D100001C 013BF5F8
	v_lshrrev_b32_e32 v28, 16, v28                             // 000000009D50: 20383890
	v_cmp_u_f32_e64 s[78:79], v31, v31                         // 000000009D54: D048004E 00023F1F
	v_bfe_u32 v248, v31, 16, 1                                 // 000000009D5C: D1C800F8 0205211F
	v_add3_u32 v248, v31, v248, v251                           // 000000009D64: D1FF00F8 07EFF11F
	v_cndmask_b32_e64 v29, v248, v250, s[78:79]                // 000000009D6C: D100001D 013BF5F8
	v_and_or_b32 v62, v29, v249, v28                           // 000000009D74: D201003E 0473F31D
	v_accvgpr_read_b32 v30, a190                               // 000000009D7C: D3D8401E 180001BE
	v_accvgpr_read_b32 v31, a191                               // 000000009D84: D3D8401F 180001BF
	v_mul_f32_e32 v30, s47, v30                                // 000000009D8C: 0A3C3C2F
	v_mul_f32_e32 v31, s47, v31                                // 000000009D90: 0A3E3E2F
	v_cmp_u_f32_e64 s[78:79], v30, v30                         // 000000009D94: D048004E 00023D1E
	v_bfe_u32 v248, v30, 16, 1                                 // 000000009D9C: D1C800F8 0205211E
	v_add3_u32 v248, v30, v248, v251                           // 000000009DA4: D1FF00F8 07EFF11E
	v_cndmask_b32_e64 v28, v248, v250, s[78:79]                // 000000009DAC: D100001C 013BF5F8
	v_lshrrev_b32_e32 v28, 16, v28                             // 000000009DB4: 20383890
	v_cmp_u_f32_e64 s[78:79], v31, v31                         // 000000009DB8: D048004E 00023F1F
	v_bfe_u32 v248, v31, 16, 1                                 // 000000009DC0: D1C800F8 0205211F
	v_add3_u32 v248, v31, v248, v251                           // 000000009DC8: D1FF00F8 07EFF11F
	v_cndmask_b32_e64 v29, v248, v250, s[78:79]                // 000000009DD0: D100001D 013BF5F8
	v_and_or_b32 v63, v29, v249, v28                           // 000000009DD8: D201003F 0473F31D
	ds_write_b64 v25, v[48:49]                                 // 000000009DE0: D89A0000 00003019
	ds_write_b64 v25, v[50:51] offset:528                      // 000000009DE8: D89A0210 00003219
	ds_write_b64 v25, v[52:53] offset:1056                     // 000000009DF0: D89A0420 00003419
	ds_write_b64 v25, v[54:55] offset:1584                     // 000000009DF8: D89A0630 00003619
	ds_write_b64 v25, v[56:57] offset:2112                     // 000000009E00: D89A0840 00003819
	ds_write_b64 v25, v[58:59] offset:2640                     // 000000009E08: D89A0A50 00003A19
	ds_write_b64 v25, v[60:61] offset:3168                     // 000000009E10: D89A0C60 00003C19
	ds_write_b64 v25, v[62:63] offset:3696                     // 000000009E18: D89A0E70 00003E19
	s_waitcnt lgkmcnt(0)                                       // 000000009E20: BF8CC07F
	s_barrier                                                  // 000000009E24: BF8A0000
	ds_read_b64 v[48:49], v24                                  // 000000009E28: D8EC0000 30000018
	ds_read_b64 v[50:51], v24 offset:128                       // 000000009E30: D8EC0080 32000018
	ds_read_b64 v[52:53], v24 offset:32                        // 000000009E38: D8EC0020 34000018
	ds_read_b64 v[54:55], v24 offset:160                       // 000000009E40: D8EC00A0 36000018
	ds_read_b64 v[56:57], v24 offset:64                        // 000000009E48: D8EC0040 38000018
	ds_read_b64 v[58:59], v24 offset:192                       // 000000009E50: D8EC00C0 3A000018
	ds_read_b64 v[60:61], v24 offset:96                        // 000000009E58: D8EC0060 3C000018
	ds_read_b64 v[62:63], v24 offset:224                       // 000000009E60: D8EC00E0 3E000018
	s_waitcnt lgkmcnt(0)                                       // 000000009E68: BF8CC07F
	s_mov_b32 s70, s52                                         // 000000009E6C: BEC60034
	buffer_store_dwordx4 v[48:51], v5, s[36:39], 0 idxen       // 000000009E70: E07C2000 80093005
	v_add_u32_e32 v5, s70, v5                                  // 000000009E78: 680A0A46
	buffer_store_dwordx4 v[52:55], v5, s[36:39], 0 idxen       // 000000009E7C: E07C2000 80093405
	v_add_u32_e32 v5, s70, v5                                  // 000000009E84: 680A0A46
	buffer_store_dwordx4 v[56:59], v5, s[36:39], 0 idxen       // 000000009E88: E07C2000 80093805
	v_add_u32_e32 v5, s70, v5                                  // 000000009E90: 680A0A46
	buffer_store_dwordx4 v[60:63], v5, s[36:39], 0 idxen       // 000000009E94: E07C2000 80093C05
	v_add_u32_e32 v5, s70, v5                                  // 000000009E9C: 680A0A46
	s_mul_i32 s60, 12, s70                                     // 000000009EA0: 923C468C
	v_add_u32_e32 v5, s60, v5                                  // 000000009EA4: 680A0A3C
	s_barrier                                                  // 000000009EA8: BF8A0000
	s_cmp_ge_i32 1, s72                                        // 000000009EAC: BF034881
	s_cbranch_scc1 label_1BCB                                  // 000000009EB0: BF85038A
	v_accvgpr_read_b32 v30, a192                               // 000000009EB4: D3D8401E 180001C0
	v_accvgpr_read_b32 v31, a193                               // 000000009EBC: D3D8401F 180001C1
	v_mul_f32_e32 v30, s47, v30                                // 000000009EC4: 0A3C3C2F
	v_mul_f32_e32 v31, s47, v31                                // 000000009EC8: 0A3E3E2F
	v_cmp_u_f32_e64 s[78:79], v30, v30                         // 000000009ECC: D048004E 00023D1E
	v_bfe_u32 v248, v30, 16, 1                                 // 000000009ED4: D1C800F8 0205211E
	v_add3_u32 v248, v30, v248, v251                           // 000000009EDC: D1FF00F8 07EFF11E
	v_cndmask_b32_e64 v28, v248, v250, s[78:79]                // 000000009EE4: D100001C 013BF5F8
	v_lshrrev_b32_e32 v28, 16, v28                             // 000000009EEC: 20383890
	v_cmp_u_f32_e64 s[78:79], v31, v31                         // 000000009EF0: D048004E 00023F1F
	v_bfe_u32 v248, v31, 16, 1                                 // 000000009EF8: D1C800F8 0205211F
	v_add3_u32 v248, v31, v248, v251                           // 000000009F00: D1FF00F8 07EFF11F
	v_cndmask_b32_e64 v29, v248, v250, s[78:79]                // 000000009F08: D100001D 013BF5F8
	v_and_or_b32 v64, v29, v249, v28                           // 000000009F10: D2010040 0473F31D
	v_accvgpr_read_b32 v30, a194                               // 000000009F18: D3D8401E 180001C2
	v_accvgpr_read_b32 v31, a195                               // 000000009F20: D3D8401F 180001C3
	v_mul_f32_e32 v30, s47, v30                                // 000000009F28: 0A3C3C2F
	v_mul_f32_e32 v31, s47, v31                                // 000000009F2C: 0A3E3E2F
	v_cmp_u_f32_e64 s[78:79], v30, v30                         // 000000009F30: D048004E 00023D1E
	v_bfe_u32 v248, v30, 16, 1                                 // 000000009F38: D1C800F8 0205211E
	v_add3_u32 v248, v30, v248, v251                           // 000000009F40: D1FF00F8 07EFF11E
	v_cndmask_b32_e64 v28, v248, v250, s[78:79]                // 000000009F48: D100001C 013BF5F8
	v_lshrrev_b32_e32 v28, 16, v28                             // 000000009F50: 20383890
	v_cmp_u_f32_e64 s[78:79], v31, v31                         // 000000009F54: D048004E 00023F1F
	v_bfe_u32 v248, v31, 16, 1                                 // 000000009F5C: D1C800F8 0205211F
	v_add3_u32 v248, v31, v248, v251                           // 000000009F64: D1FF00F8 07EFF11F
	v_cndmask_b32_e64 v29, v248, v250, s[78:79]                // 000000009F6C: D100001D 013BF5F8
	v_and_or_b32 v65, v29, v249, v28                           // 000000009F74: D2010041 0473F31D
	v_accvgpr_read_b32 v30, a196                               // 000000009F7C: D3D8401E 180001C4
	v_accvgpr_read_b32 v31, a197                               // 000000009F84: D3D8401F 180001C5
	v_mul_f32_e32 v30, s47, v30                                // 000000009F8C: 0A3C3C2F
	v_mul_f32_e32 v31, s47, v31                                // 000000009F90: 0A3E3E2F
	v_cmp_u_f32_e64 s[78:79], v30, v30                         // 000000009F94: D048004E 00023D1E
	v_bfe_u32 v248, v30, 16, 1                                 // 000000009F9C: D1C800F8 0205211E
	v_add3_u32 v248, v30, v248, v251                           // 000000009FA4: D1FF00F8 07EFF11E
	v_cndmask_b32_e64 v28, v248, v250, s[78:79]                // 000000009FAC: D100001C 013BF5F8
	v_lshrrev_b32_e32 v28, 16, v28                             // 000000009FB4: 20383890
	v_cmp_u_f32_e64 s[78:79], v31, v31                         // 000000009FB8: D048004E 00023F1F
	v_bfe_u32 v248, v31, 16, 1                                 // 000000009FC0: D1C800F8 0205211F
	v_add3_u32 v248, v31, v248, v251                           // 000000009FC8: D1FF00F8 07EFF11F
	v_cndmask_b32_e64 v29, v248, v250, s[78:79]                // 000000009FD0: D100001D 013BF5F8
	v_and_or_b32 v66, v29, v249, v28                           // 000000009FD8: D2010042 0473F31D
	v_accvgpr_read_b32 v30, a198                               // 000000009FE0: D3D8401E 180001C6
	v_accvgpr_read_b32 v31, a199                               // 000000009FE8: D3D8401F 180001C7
	v_mul_f32_e32 v30, s47, v30                                // 000000009FF0: 0A3C3C2F
	v_mul_f32_e32 v31, s47, v31                                // 000000009FF4: 0A3E3E2F
	v_cmp_u_f32_e64 s[78:79], v30, v30                         // 000000009FF8: D048004E 00023D1E
	v_bfe_u32 v248, v30, 16, 1                                 // 00000000A000: D1C800F8 0205211E
	v_add3_u32 v248, v30, v248, v251                           // 00000000A008: D1FF00F8 07EFF11E
	v_cndmask_b32_e64 v28, v248, v250, s[78:79]                // 00000000A010: D100001C 013BF5F8
	v_lshrrev_b32_e32 v28, 16, v28                             // 00000000A018: 20383890
	v_cmp_u_f32_e64 s[78:79], v31, v31                         // 00000000A01C: D048004E 00023F1F
	v_bfe_u32 v248, v31, 16, 1                                 // 00000000A024: D1C800F8 0205211F
	v_add3_u32 v248, v31, v248, v251                           // 00000000A02C: D1FF00F8 07EFF11F
	v_cndmask_b32_e64 v29, v248, v250, s[78:79]                // 00000000A034: D100001D 013BF5F8
	v_and_or_b32 v67, v29, v249, v28                           // 00000000A03C: D2010043 0473F31D
	v_accvgpr_read_b32 v30, a200                               // 00000000A044: D3D8401E 180001C8
	v_accvgpr_read_b32 v31, a201                               // 00000000A04C: D3D8401F 180001C9
	v_mul_f32_e32 v30, s47, v30                                // 00000000A054: 0A3C3C2F
	v_mul_f32_e32 v31, s47, v31                                // 00000000A058: 0A3E3E2F
	v_cmp_u_f32_e64 s[78:79], v30, v30                         // 00000000A05C: D048004E 00023D1E
	v_bfe_u32 v248, v30, 16, 1                                 // 00000000A064: D1C800F8 0205211E
	v_add3_u32 v248, v30, v248, v251                           // 00000000A06C: D1FF00F8 07EFF11E
	v_cndmask_b32_e64 v28, v248, v250, s[78:79]                // 00000000A074: D100001C 013BF5F8
	v_lshrrev_b32_e32 v28, 16, v28                             // 00000000A07C: 20383890
	v_cmp_u_f32_e64 s[78:79], v31, v31                         // 00000000A080: D048004E 00023F1F
	v_bfe_u32 v248, v31, 16, 1                                 // 00000000A088: D1C800F8 0205211F
	v_add3_u32 v248, v31, v248, v251                           // 00000000A090: D1FF00F8 07EFF11F
	v_cndmask_b32_e64 v29, v248, v250, s[78:79]                // 00000000A098: D100001D 013BF5F8
	v_and_or_b32 v68, v29, v249, v28                           // 00000000A0A0: D2010044 0473F31D
	v_accvgpr_read_b32 v30, a202                               // 00000000A0A8: D3D8401E 180001CA
	v_accvgpr_read_b32 v31, a203                               // 00000000A0B0: D3D8401F 180001CB
	v_mul_f32_e32 v30, s47, v30                                // 00000000A0B8: 0A3C3C2F
	v_mul_f32_e32 v31, s47, v31                                // 00000000A0BC: 0A3E3E2F
	v_cmp_u_f32_e64 s[78:79], v30, v30                         // 00000000A0C0: D048004E 00023D1E
	v_bfe_u32 v248, v30, 16, 1                                 // 00000000A0C8: D1C800F8 0205211E
	v_add3_u32 v248, v30, v248, v251                           // 00000000A0D0: D1FF00F8 07EFF11E
	v_cndmask_b32_e64 v28, v248, v250, s[78:79]                // 00000000A0D8: D100001C 013BF5F8
	v_lshrrev_b32_e32 v28, 16, v28                             // 00000000A0E0: 20383890
	v_cmp_u_f32_e64 s[78:79], v31, v31                         // 00000000A0E4: D048004E 00023F1F
	v_bfe_u32 v248, v31, 16, 1                                 // 00000000A0EC: D1C800F8 0205211F
	v_add3_u32 v248, v31, v248, v251                           // 00000000A0F4: D1FF00F8 07EFF11F
	v_cndmask_b32_e64 v29, v248, v250, s[78:79]                // 00000000A0FC: D100001D 013BF5F8
	v_and_or_b32 v69, v29, v249, v28                           // 00000000A104: D2010045 0473F31D
	v_accvgpr_read_b32 v30, a204                               // 00000000A10C: D3D8401E 180001CC
	v_accvgpr_read_b32 v31, a205                               // 00000000A114: D3D8401F 180001CD
	v_mul_f32_e32 v30, s47, v30                                // 00000000A11C: 0A3C3C2F
	v_mul_f32_e32 v31, s47, v31                                // 00000000A120: 0A3E3E2F
	v_cmp_u_f32_e64 s[78:79], v30, v30                         // 00000000A124: D048004E 00023D1E
	v_bfe_u32 v248, v30, 16, 1                                 // 00000000A12C: D1C800F8 0205211E
	v_add3_u32 v248, v30, v248, v251                           // 00000000A134: D1FF00F8 07EFF11E
	v_cndmask_b32_e64 v28, v248, v250, s[78:79]                // 00000000A13C: D100001C 013BF5F8
	v_lshrrev_b32_e32 v28, 16, v28                             // 00000000A144: 20383890
	v_cmp_u_f32_e64 s[78:79], v31, v31                         // 00000000A148: D048004E 00023F1F
	v_bfe_u32 v248, v31, 16, 1                                 // 00000000A150: D1C800F8 0205211F
	v_add3_u32 v248, v31, v248, v251                           // 00000000A158: D1FF00F8 07EFF11F
	v_cndmask_b32_e64 v29, v248, v250, s[78:79]                // 00000000A160: D100001D 013BF5F8
	v_and_or_b32 v70, v29, v249, v28                           // 00000000A168: D2010046 0473F31D
	v_accvgpr_read_b32 v30, a206                               // 00000000A170: D3D8401E 180001CE
	v_accvgpr_read_b32 v31, a207                               // 00000000A178: D3D8401F 180001CF
	v_mul_f32_e32 v30, s47, v30                                // 00000000A180: 0A3C3C2F
	v_mul_f32_e32 v31, s47, v31                                // 00000000A184: 0A3E3E2F
	v_cmp_u_f32_e64 s[78:79], v30, v30                         // 00000000A188: D048004E 00023D1E
	v_bfe_u32 v248, v30, 16, 1                                 // 00000000A190: D1C800F8 0205211E
	v_add3_u32 v248, v30, v248, v251                           // 00000000A198: D1FF00F8 07EFF11E
	v_cndmask_b32_e64 v28, v248, v250, s[78:79]                // 00000000A1A0: D100001C 013BF5F8
	v_lshrrev_b32_e32 v28, 16, v28                             // 00000000A1A8: 20383890
	v_cmp_u_f32_e64 s[78:79], v31, v31                         // 00000000A1AC: D048004E 00023F1F
	v_bfe_u32 v248, v31, 16, 1                                 // 00000000A1B4: D1C800F8 0205211F
	v_add3_u32 v248, v31, v248, v251                           // 00000000A1BC: D1FF00F8 07EFF11F
	v_cndmask_b32_e64 v29, v248, v250, s[78:79]                // 00000000A1C4: D100001D 013BF5F8
	v_and_or_b32 v71, v29, v249, v28                           // 00000000A1CC: D2010047 0473F31D
	v_accvgpr_read_b32 v30, a208                               // 00000000A1D4: D3D8401E 180001D0
	v_accvgpr_read_b32 v31, a209                               // 00000000A1DC: D3D8401F 180001D1
	v_mul_f32_e32 v30, s47, v30                                // 00000000A1E4: 0A3C3C2F
	v_mul_f32_e32 v31, s47, v31                                // 00000000A1E8: 0A3E3E2F
	v_cmp_u_f32_e64 s[78:79], v30, v30                         // 00000000A1EC: D048004E 00023D1E
	v_bfe_u32 v248, v30, 16, 1                                 // 00000000A1F4: D1C800F8 0205211E
	v_add3_u32 v248, v30, v248, v251                           // 00000000A1FC: D1FF00F8 07EFF11E
	v_cndmask_b32_e64 v28, v248, v250, s[78:79]                // 00000000A204: D100001C 013BF5F8
	v_lshrrev_b32_e32 v28, 16, v28                             // 00000000A20C: 20383890
	v_cmp_u_f32_e64 s[78:79], v31, v31                         // 00000000A210: D048004E 00023F1F
	v_bfe_u32 v248, v31, 16, 1                                 // 00000000A218: D1C800F8 0205211F
	v_add3_u32 v248, v31, v248, v251                           // 00000000A220: D1FF00F8 07EFF11F
	v_cndmask_b32_e64 v29, v248, v250, s[78:79]                // 00000000A228: D100001D 013BF5F8
	v_and_or_b32 v72, v29, v249, v28                           // 00000000A230: D2010048 0473F31D
	v_accvgpr_read_b32 v30, a210                               // 00000000A238: D3D8401E 180001D2
	v_accvgpr_read_b32 v31, a211                               // 00000000A240: D3D8401F 180001D3
	v_mul_f32_e32 v30, s47, v30                                // 00000000A248: 0A3C3C2F
	v_mul_f32_e32 v31, s47, v31                                // 00000000A24C: 0A3E3E2F
	v_cmp_u_f32_e64 s[78:79], v30, v30                         // 00000000A250: D048004E 00023D1E
	v_bfe_u32 v248, v30, 16, 1                                 // 00000000A258: D1C800F8 0205211E
	v_add3_u32 v248, v30, v248, v251                           // 00000000A260: D1FF00F8 07EFF11E
	v_cndmask_b32_e64 v28, v248, v250, s[78:79]                // 00000000A268: D100001C 013BF5F8
	v_lshrrev_b32_e32 v28, 16, v28                             // 00000000A270: 20383890
	v_cmp_u_f32_e64 s[78:79], v31, v31                         // 00000000A274: D048004E 00023F1F
	v_bfe_u32 v248, v31, 16, 1                                 // 00000000A27C: D1C800F8 0205211F
	v_add3_u32 v248, v31, v248, v251                           // 00000000A284: D1FF00F8 07EFF11F
	v_cndmask_b32_e64 v29, v248, v250, s[78:79]                // 00000000A28C: D100001D 013BF5F8
	v_and_or_b32 v73, v29, v249, v28                           // 00000000A294: D2010049 0473F31D
	v_accvgpr_read_b32 v30, a212                               // 00000000A29C: D3D8401E 180001D4
	v_accvgpr_read_b32 v31, a213                               // 00000000A2A4: D3D8401F 180001D5
	v_mul_f32_e32 v30, s47, v30                                // 00000000A2AC: 0A3C3C2F
	v_mul_f32_e32 v31, s47, v31                                // 00000000A2B0: 0A3E3E2F
	v_cmp_u_f32_e64 s[78:79], v30, v30                         // 00000000A2B4: D048004E 00023D1E
	v_bfe_u32 v248, v30, 16, 1                                 // 00000000A2BC: D1C800F8 0205211E
	v_add3_u32 v248, v30, v248, v251                           // 00000000A2C4: D1FF00F8 07EFF11E
	v_cndmask_b32_e64 v28, v248, v250, s[78:79]                // 00000000A2CC: D100001C 013BF5F8
	v_lshrrev_b32_e32 v28, 16, v28                             // 00000000A2D4: 20383890
	v_cmp_u_f32_e64 s[78:79], v31, v31                         // 00000000A2D8: D048004E 00023F1F
	v_bfe_u32 v248, v31, 16, 1                                 // 00000000A2E0: D1C800F8 0205211F
	v_add3_u32 v248, v31, v248, v251                           // 00000000A2E8: D1FF00F8 07EFF11F
	v_cndmask_b32_e64 v29, v248, v250, s[78:79]                // 00000000A2F0: D100001D 013BF5F8
	v_and_or_b32 v74, v29, v249, v28                           // 00000000A2F8: D201004A 0473F31D
	v_accvgpr_read_b32 v30, a214                               // 00000000A300: D3D8401E 180001D6
	v_accvgpr_read_b32 v31, a215                               // 00000000A308: D3D8401F 180001D7
	v_mul_f32_e32 v30, s47, v30                                // 00000000A310: 0A3C3C2F
	v_mul_f32_e32 v31, s47, v31                                // 00000000A314: 0A3E3E2F
	v_cmp_u_f32_e64 s[78:79], v30, v30                         // 00000000A318: D048004E 00023D1E
	v_bfe_u32 v248, v30, 16, 1                                 // 00000000A320: D1C800F8 0205211E
	v_add3_u32 v248, v30, v248, v251                           // 00000000A328: D1FF00F8 07EFF11E
	v_cndmask_b32_e64 v28, v248, v250, s[78:79]                // 00000000A330: D100001C 013BF5F8
	v_lshrrev_b32_e32 v28, 16, v28                             // 00000000A338: 20383890
	v_cmp_u_f32_e64 s[78:79], v31, v31                         // 00000000A33C: D048004E 00023F1F
	v_bfe_u32 v248, v31, 16, 1                                 // 00000000A344: D1C800F8 0205211F
	v_add3_u32 v248, v31, v248, v251                           // 00000000A34C: D1FF00F8 07EFF11F
	v_cndmask_b32_e64 v29, v248, v250, s[78:79]                // 00000000A354: D100001D 013BF5F8
	v_and_or_b32 v75, v29, v249, v28                           // 00000000A35C: D201004B 0473F31D
	v_accvgpr_read_b32 v30, a216                               // 00000000A364: D3D8401E 180001D8
	v_accvgpr_read_b32 v31, a217                               // 00000000A36C: D3D8401F 180001D9
	v_mul_f32_e32 v30, s47, v30                                // 00000000A374: 0A3C3C2F
	v_mul_f32_e32 v31, s47, v31                                // 00000000A378: 0A3E3E2F
	v_cmp_u_f32_e64 s[78:79], v30, v30                         // 00000000A37C: D048004E 00023D1E
	v_bfe_u32 v248, v30, 16, 1                                 // 00000000A384: D1C800F8 0205211E
	v_add3_u32 v248, v30, v248, v251                           // 00000000A38C: D1FF00F8 07EFF11E
	v_cndmask_b32_e64 v28, v248, v250, s[78:79]                // 00000000A394: D100001C 013BF5F8
	v_lshrrev_b32_e32 v28, 16, v28                             // 00000000A39C: 20383890
	v_cmp_u_f32_e64 s[78:79], v31, v31                         // 00000000A3A0: D048004E 00023F1F
	v_bfe_u32 v248, v31, 16, 1                                 // 00000000A3A8: D1C800F8 0205211F
	v_add3_u32 v248, v31, v248, v251                           // 00000000A3B0: D1FF00F8 07EFF11F
	v_cndmask_b32_e64 v29, v248, v250, s[78:79]                // 00000000A3B8: D100001D 013BF5F8
	v_and_or_b32 v76, v29, v249, v28                           // 00000000A3C0: D201004C 0473F31D
	v_accvgpr_read_b32 v30, a218                               // 00000000A3C8: D3D8401E 180001DA
	v_accvgpr_read_b32 v31, a219                               // 00000000A3D0: D3D8401F 180001DB
	v_mul_f32_e32 v30, s47, v30                                // 00000000A3D8: 0A3C3C2F
	v_mul_f32_e32 v31, s47, v31                                // 00000000A3DC: 0A3E3E2F
	v_cmp_u_f32_e64 s[78:79], v30, v30                         // 00000000A3E0: D048004E 00023D1E
	v_bfe_u32 v248, v30, 16, 1                                 // 00000000A3E8: D1C800F8 0205211E
	v_add3_u32 v248, v30, v248, v251                           // 00000000A3F0: D1FF00F8 07EFF11E
	v_cndmask_b32_e64 v28, v248, v250, s[78:79]                // 00000000A3F8: D100001C 013BF5F8
	v_lshrrev_b32_e32 v28, 16, v28                             // 00000000A400: 20383890
	v_cmp_u_f32_e64 s[78:79], v31, v31                         // 00000000A404: D048004E 00023F1F
	v_bfe_u32 v248, v31, 16, 1                                 // 00000000A40C: D1C800F8 0205211F
	v_add3_u32 v248, v31, v248, v251                           // 00000000A414: D1FF00F8 07EFF11F
	v_cndmask_b32_e64 v29, v248, v250, s[78:79]                // 00000000A41C: D100001D 013BF5F8
	v_and_or_b32 v77, v29, v249, v28                           // 00000000A424: D201004D 0473F31D
	v_accvgpr_read_b32 v30, a220                               // 00000000A42C: D3D8401E 180001DC
	v_accvgpr_read_b32 v31, a221                               // 00000000A434: D3D8401F 180001DD
	v_mul_f32_e32 v30, s47, v30                                // 00000000A43C: 0A3C3C2F
	v_mul_f32_e32 v31, s47, v31                                // 00000000A440: 0A3E3E2F
	v_cmp_u_f32_e64 s[78:79], v30, v30                         // 00000000A444: D048004E 00023D1E
	v_bfe_u32 v248, v30, 16, 1                                 // 00000000A44C: D1C800F8 0205211E
	v_add3_u32 v248, v30, v248, v251                           // 00000000A454: D1FF00F8 07EFF11E
	v_cndmask_b32_e64 v28, v248, v250, s[78:79]                // 00000000A45C: D100001C 013BF5F8
	v_lshrrev_b32_e32 v28, 16, v28                             // 00000000A464: 20383890
	v_cmp_u_f32_e64 s[78:79], v31, v31                         // 00000000A468: D048004E 00023F1F
	v_bfe_u32 v248, v31, 16, 1                                 // 00000000A470: D1C800F8 0205211F
	v_add3_u32 v248, v31, v248, v251                           // 00000000A478: D1FF00F8 07EFF11F
	v_cndmask_b32_e64 v29, v248, v250, s[78:79]                // 00000000A480: D100001D 013BF5F8
	v_and_or_b32 v78, v29, v249, v28                           // 00000000A488: D201004E 0473F31D
	v_accvgpr_read_b32 v30, a222                               // 00000000A490: D3D8401E 180001DE
	v_accvgpr_read_b32 v31, a223                               // 00000000A498: D3D8401F 180001DF
	v_mul_f32_e32 v30, s47, v30                                // 00000000A4A0: 0A3C3C2F
	v_mul_f32_e32 v31, s47, v31                                // 00000000A4A4: 0A3E3E2F
	v_cmp_u_f32_e64 s[78:79], v30, v30                         // 00000000A4A8: D048004E 00023D1E
	v_bfe_u32 v248, v30, 16, 1                                 // 00000000A4B0: D1C800F8 0205211E
	v_add3_u32 v248, v30, v248, v251                           // 00000000A4B8: D1FF00F8 07EFF11E
	v_cndmask_b32_e64 v28, v248, v250, s[78:79]                // 00000000A4C0: D100001C 013BF5F8
	v_lshrrev_b32_e32 v28, 16, v28                             // 00000000A4C8: 20383890
	v_cmp_u_f32_e64 s[78:79], v31, v31                         // 00000000A4CC: D048004E 00023F1F
	v_bfe_u32 v248, v31, 16, 1                                 // 00000000A4D4: D1C800F8 0205211F
	v_add3_u32 v248, v31, v248, v251                           // 00000000A4DC: D1FF00F8 07EFF11F
	v_cndmask_b32_e64 v29, v248, v250, s[78:79]                // 00000000A4E4: D100001D 013BF5F8
	v_and_or_b32 v79, v29, v249, v28                           // 00000000A4EC: D201004F 0473F31D
	ds_write_b64 v25, v[64:65] offset:16896                    // 00000000A4F4: D89A4200 00004019
	ds_write_b64 v25, v[66:67] offset:17424                    // 00000000A4FC: D89A4410 00004219
	ds_write_b64 v25, v[68:69] offset:17952                    // 00000000A504: D89A4620 00004419
	ds_write_b64 v25, v[70:71] offset:18480                    // 00000000A50C: D89A4830 00004619
	ds_write_b64 v25, v[72:73] offset:19008                    // 00000000A514: D89A4A40 00004819
	ds_write_b64 v25, v[74:75] offset:19536                    // 00000000A51C: D89A4C50 00004A19
	ds_write_b64 v25, v[76:77] offset:20064                    // 00000000A524: D89A4E60 00004C19
	ds_write_b64 v25, v[78:79] offset:20592                    // 00000000A52C: D89A5070 00004E19
	s_waitcnt lgkmcnt(0)                                       // 00000000A534: BF8CC07F
	s_barrier                                                  // 00000000A538: BF8A0000
	ds_read_b64 v[64:65], v24 offset:16896                     // 00000000A53C: D8EC4200 40000018
	ds_read_b64 v[66:67], v24 offset:17024                     // 00000000A544: D8EC4280 42000018
	ds_read_b64 v[68:69], v24 offset:16928                     // 00000000A54C: D8EC4220 44000018
	ds_read_b64 v[70:71], v24 offset:17056                     // 00000000A554: D8EC42A0 46000018
	ds_read_b64 v[72:73], v24 offset:16960                     // 00000000A55C: D8EC4240 48000018
	ds_read_b64 v[74:75], v24 offset:17088                     // 00000000A564: D8EC42C0 4A000018
	ds_read_b64 v[76:77], v24 offset:16992                     // 00000000A56C: D8EC4260 4C000018
	ds_read_b64 v[78:79], v24 offset:17120                     // 00000000A574: D8EC42E0 4E000018
	s_waitcnt lgkmcnt(0)                                       // 00000000A57C: BF8CC07F
	s_mov_b32 s70, s52                                         // 00000000A580: BEC60034
	buffer_store_dwordx4 v[64:67], v5, s[36:39], 0 idxen       // 00000000A584: E07C2000 80094005
	v_add_u32_e32 v5, s70, v5                                  // 00000000A58C: 680A0A46
	buffer_store_dwordx4 v[68:71], v5, s[36:39], 0 idxen       // 00000000A590: E07C2000 80094405
	v_add_u32_e32 v5, s70, v5                                  // 00000000A598: 680A0A46
	buffer_store_dwordx4 v[72:75], v5, s[36:39], 0 idxen       // 00000000A59C: E07C2000 80094805
	v_add_u32_e32 v5, s70, v5                                  // 00000000A5A4: 680A0A46
	buffer_store_dwordx4 v[76:79], v5, s[36:39], 0 idxen       // 00000000A5A8: E07C2000 80094C05
	v_add_u32_e32 v5, s70, v5                                  // 00000000A5B0: 680A0A46
	s_mul_i32 s60, 12, s70                                     // 00000000A5B4: 923C468C
	v_add_u32_e32 v5, s60, v5                                  // 00000000A5B8: 680A0A3C
	s_barrier                                                  // 00000000A5BC: BF8A0000
	s_cmp_ge_i32 2, s72                                        // 00000000A5C0: BF034882
	s_cbranch_scc1 label_1BCB                                  // 00000000A5C4: BF8501C5
	v_accvgpr_read_b32 v30, a224                               // 00000000A5C8: D3D8401E 180001E0
	v_accvgpr_read_b32 v31, a225                               // 00000000A5D0: D3D8401F 180001E1
	v_mul_f32_e32 v30, s47, v30                                // 00000000A5D8: 0A3C3C2F
	v_mul_f32_e32 v31, s47, v31                                // 00000000A5DC: 0A3E3E2F
	v_cmp_u_f32_e64 s[78:79], v30, v30                         // 00000000A5E0: D048004E 00023D1E
	v_bfe_u32 v248, v30, 16, 1                                 // 00000000A5E8: D1C800F8 0205211E
	v_add3_u32 v248, v30, v248, v251                           // 00000000A5F0: D1FF00F8 07EFF11E
	v_cndmask_b32_e64 v28, v248, v250, s[78:79]                // 00000000A5F8: D100001C 013BF5F8
	v_lshrrev_b32_e32 v28, 16, v28                             // 00000000A600: 20383890
	v_cmp_u_f32_e64 s[78:79], v31, v31                         // 00000000A604: D048004E 00023F1F
	v_bfe_u32 v248, v31, 16, 1                                 // 00000000A60C: D1C800F8 0205211F
	v_add3_u32 v248, v31, v248, v251                           // 00000000A614: D1FF00F8 07EFF11F
	v_cndmask_b32_e64 v29, v248, v250, s[78:79]                // 00000000A61C: D100001D 013BF5F8
	v_and_or_b32 v80, v29, v249, v28                           // 00000000A624: D2010050 0473F31D
	v_accvgpr_read_b32 v30, a226                               // 00000000A62C: D3D8401E 180001E2
	v_accvgpr_read_b32 v31, a227                               // 00000000A634: D3D8401F 180001E3
	v_mul_f32_e32 v30, s47, v30                                // 00000000A63C: 0A3C3C2F
	v_mul_f32_e32 v31, s47, v31                                // 00000000A640: 0A3E3E2F
	v_cmp_u_f32_e64 s[78:79], v30, v30                         // 00000000A644: D048004E 00023D1E
	v_bfe_u32 v248, v30, 16, 1                                 // 00000000A64C: D1C800F8 0205211E
	v_add3_u32 v248, v30, v248, v251                           // 00000000A654: D1FF00F8 07EFF11E
	v_cndmask_b32_e64 v28, v248, v250, s[78:79]                // 00000000A65C: D100001C 013BF5F8
	v_lshrrev_b32_e32 v28, 16, v28                             // 00000000A664: 20383890
	v_cmp_u_f32_e64 s[78:79], v31, v31                         // 00000000A668: D048004E 00023F1F
	v_bfe_u32 v248, v31, 16, 1                                 // 00000000A670: D1C800F8 0205211F
	v_add3_u32 v248, v31, v248, v251                           // 00000000A678: D1FF00F8 07EFF11F
	v_cndmask_b32_e64 v29, v248, v250, s[78:79]                // 00000000A680: D100001D 013BF5F8
	v_and_or_b32 v81, v29, v249, v28                           // 00000000A688: D2010051 0473F31D
	v_accvgpr_read_b32 v30, a228                               // 00000000A690: D3D8401E 180001E4
	v_accvgpr_read_b32 v31, a229                               // 00000000A698: D3D8401F 180001E5
	v_mul_f32_e32 v30, s47, v30                                // 00000000A6A0: 0A3C3C2F
	v_mul_f32_e32 v31, s47, v31                                // 00000000A6A4: 0A3E3E2F
	v_cmp_u_f32_e64 s[78:79], v30, v30                         // 00000000A6A8: D048004E 00023D1E
	v_bfe_u32 v248, v30, 16, 1                                 // 00000000A6B0: D1C800F8 0205211E
	v_add3_u32 v248, v30, v248, v251                           // 00000000A6B8: D1FF00F8 07EFF11E
	v_cndmask_b32_e64 v28, v248, v250, s[78:79]                // 00000000A6C0: D100001C 013BF5F8
	v_lshrrev_b32_e32 v28, 16, v28                             // 00000000A6C8: 20383890
	v_cmp_u_f32_e64 s[78:79], v31, v31                         // 00000000A6CC: D048004E 00023F1F
	v_bfe_u32 v248, v31, 16, 1                                 // 00000000A6D4: D1C800F8 0205211F
	v_add3_u32 v248, v31, v248, v251                           // 00000000A6DC: D1FF00F8 07EFF11F
	v_cndmask_b32_e64 v29, v248, v250, s[78:79]                // 00000000A6E4: D100001D 013BF5F8
	v_and_or_b32 v82, v29, v249, v28                           // 00000000A6EC: D2010052 0473F31D
	v_accvgpr_read_b32 v30, a230                               // 00000000A6F4: D3D8401E 180001E6
	v_accvgpr_read_b32 v31, a231                               // 00000000A6FC: D3D8401F 180001E7
	v_mul_f32_e32 v30, s47, v30                                // 00000000A704: 0A3C3C2F
	v_mul_f32_e32 v31, s47, v31                                // 00000000A708: 0A3E3E2F
	v_cmp_u_f32_e64 s[78:79], v30, v30                         // 00000000A70C: D048004E 00023D1E
	v_bfe_u32 v248, v30, 16, 1                                 // 00000000A714: D1C800F8 0205211E
	v_add3_u32 v248, v30, v248, v251                           // 00000000A71C: D1FF00F8 07EFF11E
	v_cndmask_b32_e64 v28, v248, v250, s[78:79]                // 00000000A724: D100001C 013BF5F8
	v_lshrrev_b32_e32 v28, 16, v28                             // 00000000A72C: 20383890
	v_cmp_u_f32_e64 s[78:79], v31, v31                         // 00000000A730: D048004E 00023F1F
	v_bfe_u32 v248, v31, 16, 1                                 // 00000000A738: D1C800F8 0205211F
	v_add3_u32 v248, v31, v248, v251                           // 00000000A740: D1FF00F8 07EFF11F
	v_cndmask_b32_e64 v29, v248, v250, s[78:79]                // 00000000A748: D100001D 013BF5F8
	v_and_or_b32 v83, v29, v249, v28                           // 00000000A750: D2010053 0473F31D
	v_accvgpr_read_b32 v30, a232                               // 00000000A758: D3D8401E 180001E8
	v_accvgpr_read_b32 v31, a233                               // 00000000A760: D3D8401F 180001E9
	v_mul_f32_e32 v30, s47, v30                                // 00000000A768: 0A3C3C2F
	v_mul_f32_e32 v31, s47, v31                                // 00000000A76C: 0A3E3E2F
	v_cmp_u_f32_e64 s[78:79], v30, v30                         // 00000000A770: D048004E 00023D1E
	v_bfe_u32 v248, v30, 16, 1                                 // 00000000A778: D1C800F8 0205211E
	v_add3_u32 v248, v30, v248, v251                           // 00000000A780: D1FF00F8 07EFF11E
	v_cndmask_b32_e64 v28, v248, v250, s[78:79]                // 00000000A788: D100001C 013BF5F8
	v_lshrrev_b32_e32 v28, 16, v28                             // 00000000A790: 20383890
	v_cmp_u_f32_e64 s[78:79], v31, v31                         // 00000000A794: D048004E 00023F1F
	v_bfe_u32 v248, v31, 16, 1                                 // 00000000A79C: D1C800F8 0205211F
	v_add3_u32 v248, v31, v248, v251                           // 00000000A7A4: D1FF00F8 07EFF11F
	v_cndmask_b32_e64 v29, v248, v250, s[78:79]                // 00000000A7AC: D100001D 013BF5F8
	v_and_or_b32 v84, v29, v249, v28                           // 00000000A7B4: D2010054 0473F31D
	v_accvgpr_read_b32 v30, a234                               // 00000000A7BC: D3D8401E 180001EA
	v_accvgpr_read_b32 v31, a235                               // 00000000A7C4: D3D8401F 180001EB
	v_mul_f32_e32 v30, s47, v30                                // 00000000A7CC: 0A3C3C2F
	v_mul_f32_e32 v31, s47, v31                                // 00000000A7D0: 0A3E3E2F
	v_cmp_u_f32_e64 s[78:79], v30, v30                         // 00000000A7D4: D048004E 00023D1E
	v_bfe_u32 v248, v30, 16, 1                                 // 00000000A7DC: D1C800F8 0205211E
	v_add3_u32 v248, v30, v248, v251                           // 00000000A7E4: D1FF00F8 07EFF11E
	v_cndmask_b32_e64 v28, v248, v250, s[78:79]                // 00000000A7EC: D100001C 013BF5F8
	v_lshrrev_b32_e32 v28, 16, v28                             // 00000000A7F4: 20383890
	v_cmp_u_f32_e64 s[78:79], v31, v31                         // 00000000A7F8: D048004E 00023F1F
	v_bfe_u32 v248, v31, 16, 1                                 // 00000000A800: D1C800F8 0205211F
	v_add3_u32 v248, v31, v248, v251                           // 00000000A808: D1FF00F8 07EFF11F
	v_cndmask_b32_e64 v29, v248, v250, s[78:79]                // 00000000A810: D100001D 013BF5F8
	v_and_or_b32 v85, v29, v249, v28                           // 00000000A818: D2010055 0473F31D
	v_accvgpr_read_b32 v30, a236                               // 00000000A820: D3D8401E 180001EC
	v_accvgpr_read_b32 v31, a237                               // 00000000A828: D3D8401F 180001ED
	v_mul_f32_e32 v30, s47, v30                                // 00000000A830: 0A3C3C2F
	v_mul_f32_e32 v31, s47, v31                                // 00000000A834: 0A3E3E2F
	v_cmp_u_f32_e64 s[78:79], v30, v30                         // 00000000A838: D048004E 00023D1E
	v_bfe_u32 v248, v30, 16, 1                                 // 00000000A840: D1C800F8 0205211E
	v_add3_u32 v248, v30, v248, v251                           // 00000000A848: D1FF00F8 07EFF11E
	v_cndmask_b32_e64 v28, v248, v250, s[78:79]                // 00000000A850: D100001C 013BF5F8
	v_lshrrev_b32_e32 v28, 16, v28                             // 00000000A858: 20383890
	v_cmp_u_f32_e64 s[78:79], v31, v31                         // 00000000A85C: D048004E 00023F1F
	v_bfe_u32 v248, v31, 16, 1                                 // 00000000A864: D1C800F8 0205211F
	v_add3_u32 v248, v31, v248, v251                           // 00000000A86C: D1FF00F8 07EFF11F
	v_cndmask_b32_e64 v29, v248, v250, s[78:79]                // 00000000A874: D100001D 013BF5F8
	v_and_or_b32 v86, v29, v249, v28                           // 00000000A87C: D2010056 0473F31D
	v_accvgpr_read_b32 v30, a238                               // 00000000A884: D3D8401E 180001EE
	v_accvgpr_read_b32 v31, a239                               // 00000000A88C: D3D8401F 180001EF
	v_mul_f32_e32 v30, s47, v30                                // 00000000A894: 0A3C3C2F
	v_mul_f32_e32 v31, s47, v31                                // 00000000A898: 0A3E3E2F
	v_cmp_u_f32_e64 s[78:79], v30, v30                         // 00000000A89C: D048004E 00023D1E
	v_bfe_u32 v248, v30, 16, 1                                 // 00000000A8A4: D1C800F8 0205211E
	v_add3_u32 v248, v30, v248, v251                           // 00000000A8AC: D1FF00F8 07EFF11E
	v_cndmask_b32_e64 v28, v248, v250, s[78:79]                // 00000000A8B4: D100001C 013BF5F8
	v_lshrrev_b32_e32 v28, 16, v28                             // 00000000A8BC: 20383890
	v_cmp_u_f32_e64 s[78:79], v31, v31                         // 00000000A8C0: D048004E 00023F1F
	v_bfe_u32 v248, v31, 16, 1                                 // 00000000A8C8: D1C800F8 0205211F
	v_add3_u32 v248, v31, v248, v251                           // 00000000A8D0: D1FF00F8 07EFF11F
	v_cndmask_b32_e64 v29, v248, v250, s[78:79]                // 00000000A8D8: D100001D 013BF5F8
	v_and_or_b32 v87, v29, v249, v28                           // 00000000A8E0: D2010057 0473F31D
	v_accvgpr_read_b32 v30, a240                               // 00000000A8E8: D3D8401E 180001F0
	v_accvgpr_read_b32 v31, a241                               // 00000000A8F0: D3D8401F 180001F1
	v_mul_f32_e32 v30, s47, v30                                // 00000000A8F8: 0A3C3C2F
	v_mul_f32_e32 v31, s47, v31                                // 00000000A8FC: 0A3E3E2F
	v_cmp_u_f32_e64 s[78:79], v30, v30                         // 00000000A900: D048004E 00023D1E
	v_bfe_u32 v248, v30, 16, 1                                 // 00000000A908: D1C800F8 0205211E
	v_add3_u32 v248, v30, v248, v251                           // 00000000A910: D1FF00F8 07EFF11E
	v_cndmask_b32_e64 v28, v248, v250, s[78:79]                // 00000000A918: D100001C 013BF5F8
	v_lshrrev_b32_e32 v28, 16, v28                             // 00000000A920: 20383890
	v_cmp_u_f32_e64 s[78:79], v31, v31                         // 00000000A924: D048004E 00023F1F
	v_bfe_u32 v248, v31, 16, 1                                 // 00000000A92C: D1C800F8 0205211F
	v_add3_u32 v248, v31, v248, v251                           // 00000000A934: D1FF00F8 07EFF11F
	v_cndmask_b32_e64 v29, v248, v250, s[78:79]                // 00000000A93C: D100001D 013BF5F8
	v_and_or_b32 v88, v29, v249, v28                           // 00000000A944: D2010058 0473F31D
	v_accvgpr_read_b32 v30, a242                               // 00000000A94C: D3D8401E 180001F2
	v_accvgpr_read_b32 v31, a243                               // 00000000A954: D3D8401F 180001F3
	v_mul_f32_e32 v30, s47, v30                                // 00000000A95C: 0A3C3C2F
	v_mul_f32_e32 v31, s47, v31                                // 00000000A960: 0A3E3E2F
	v_cmp_u_f32_e64 s[78:79], v30, v30                         // 00000000A964: D048004E 00023D1E
	v_bfe_u32 v248, v30, 16, 1                                 // 00000000A96C: D1C800F8 0205211E
	v_add3_u32 v248, v30, v248, v251                           // 00000000A974: D1FF00F8 07EFF11E
	v_cndmask_b32_e64 v28, v248, v250, s[78:79]                // 00000000A97C: D100001C 013BF5F8
	v_lshrrev_b32_e32 v28, 16, v28                             // 00000000A984: 20383890
	v_cmp_u_f32_e64 s[78:79], v31, v31                         // 00000000A988: D048004E 00023F1F
	v_bfe_u32 v248, v31, 16, 1                                 // 00000000A990: D1C800F8 0205211F
	v_add3_u32 v248, v31, v248, v251                           // 00000000A998: D1FF00F8 07EFF11F
	v_cndmask_b32_e64 v29, v248, v250, s[78:79]                // 00000000A9A0: D100001D 013BF5F8
	v_and_or_b32 v89, v29, v249, v28                           // 00000000A9A8: D2010059 0473F31D
	v_accvgpr_read_b32 v30, a244                               // 00000000A9B0: D3D8401E 180001F4
	v_accvgpr_read_b32 v31, a245                               // 00000000A9B8: D3D8401F 180001F5
	v_mul_f32_e32 v30, s47, v30                                // 00000000A9C0: 0A3C3C2F
	v_mul_f32_e32 v31, s47, v31                                // 00000000A9C4: 0A3E3E2F
	v_cmp_u_f32_e64 s[78:79], v30, v30                         // 00000000A9C8: D048004E 00023D1E
	v_bfe_u32 v248, v30, 16, 1                                 // 00000000A9D0: D1C800F8 0205211E
	v_add3_u32 v248, v30, v248, v251                           // 00000000A9D8: D1FF00F8 07EFF11E
	v_cndmask_b32_e64 v28, v248, v250, s[78:79]                // 00000000A9E0: D100001C 013BF5F8
	v_lshrrev_b32_e32 v28, 16, v28                             // 00000000A9E8: 20383890
	v_cmp_u_f32_e64 s[78:79], v31, v31                         // 00000000A9EC: D048004E 00023F1F
	v_bfe_u32 v248, v31, 16, 1                                 // 00000000A9F4: D1C800F8 0205211F
	v_add3_u32 v248, v31, v248, v251                           // 00000000A9FC: D1FF00F8 07EFF11F
	v_cndmask_b32_e64 v29, v248, v250, s[78:79]                // 00000000AA04: D100001D 013BF5F8
	v_and_or_b32 v90, v29, v249, v28                           // 00000000AA0C: D201005A 0473F31D
	v_accvgpr_read_b32 v30, a246                               // 00000000AA14: D3D8401E 180001F6
	v_accvgpr_read_b32 v31, a247                               // 00000000AA1C: D3D8401F 180001F7
	v_mul_f32_e32 v30, s47, v30                                // 00000000AA24: 0A3C3C2F
	v_mul_f32_e32 v31, s47, v31                                // 00000000AA28: 0A3E3E2F
	v_cmp_u_f32_e64 s[78:79], v30, v30                         // 00000000AA2C: D048004E 00023D1E
	v_bfe_u32 v248, v30, 16, 1                                 // 00000000AA34: D1C800F8 0205211E
	v_add3_u32 v248, v30, v248, v251                           // 00000000AA3C: D1FF00F8 07EFF11E
	v_cndmask_b32_e64 v28, v248, v250, s[78:79]                // 00000000AA44: D100001C 013BF5F8
	v_lshrrev_b32_e32 v28, 16, v28                             // 00000000AA4C: 20383890
	v_cmp_u_f32_e64 s[78:79], v31, v31                         // 00000000AA50: D048004E 00023F1F
	v_bfe_u32 v248, v31, 16, 1                                 // 00000000AA58: D1C800F8 0205211F
	v_add3_u32 v248, v31, v248, v251                           // 00000000AA60: D1FF00F8 07EFF11F
	v_cndmask_b32_e64 v29, v248, v250, s[78:79]                // 00000000AA68: D100001D 013BF5F8
	v_and_or_b32 v91, v29, v249, v28                           // 00000000AA70: D201005B 0473F31D
	v_accvgpr_read_b32 v30, a248                               // 00000000AA78: D3D8401E 180001F8
	v_accvgpr_read_b32 v31, a249                               // 00000000AA80: D3D8401F 180001F9
	v_mul_f32_e32 v30, s47, v30                                // 00000000AA88: 0A3C3C2F
	v_mul_f32_e32 v31, s47, v31                                // 00000000AA8C: 0A3E3E2F
	v_cmp_u_f32_e64 s[78:79], v30, v30                         // 00000000AA90: D048004E 00023D1E
	v_bfe_u32 v248, v30, 16, 1                                 // 00000000AA98: D1C800F8 0205211E
	v_add3_u32 v248, v30, v248, v251                           // 00000000AAA0: D1FF00F8 07EFF11E
	v_cndmask_b32_e64 v28, v248, v250, s[78:79]                // 00000000AAA8: D100001C 013BF5F8
	v_lshrrev_b32_e32 v28, 16, v28                             // 00000000AAB0: 20383890
	v_cmp_u_f32_e64 s[78:79], v31, v31                         // 00000000AAB4: D048004E 00023F1F
	v_bfe_u32 v248, v31, 16, 1                                 // 00000000AABC: D1C800F8 0205211F
	v_add3_u32 v248, v31, v248, v251                           // 00000000AAC4: D1FF00F8 07EFF11F
	v_cndmask_b32_e64 v29, v248, v250, s[78:79]                // 00000000AACC: D100001D 013BF5F8
	v_and_or_b32 v92, v29, v249, v28                           // 00000000AAD4: D201005C 0473F31D
	v_accvgpr_read_b32 v30, a250                               // 00000000AADC: D3D8401E 180001FA
	v_accvgpr_read_b32 v31, a251                               // 00000000AAE4: D3D8401F 180001FB
	v_mul_f32_e32 v30, s47, v30                                // 00000000AAEC: 0A3C3C2F
	v_mul_f32_e32 v31, s47, v31                                // 00000000AAF0: 0A3E3E2F
	v_cmp_u_f32_e64 s[78:79], v30, v30                         // 00000000AAF4: D048004E 00023D1E
	v_bfe_u32 v248, v30, 16, 1                                 // 00000000AAFC: D1C800F8 0205211E
	v_add3_u32 v248, v30, v248, v251                           // 00000000AB04: D1FF00F8 07EFF11E
	v_cndmask_b32_e64 v28, v248, v250, s[78:79]                // 00000000AB0C: D100001C 013BF5F8
	v_lshrrev_b32_e32 v28, 16, v28                             // 00000000AB14: 20383890
	v_cmp_u_f32_e64 s[78:79], v31, v31                         // 00000000AB18: D048004E 00023F1F
	v_bfe_u32 v248, v31, 16, 1                                 // 00000000AB20: D1C800F8 0205211F
	v_add3_u32 v248, v31, v248, v251                           // 00000000AB28: D1FF00F8 07EFF11F
	v_cndmask_b32_e64 v29, v248, v250, s[78:79]                // 00000000AB30: D100001D 013BF5F8
	v_and_or_b32 v93, v29, v249, v28                           // 00000000AB38: D201005D 0473F31D
	v_accvgpr_read_b32 v30, a252                               // 00000000AB40: D3D8401E 180001FC
	v_accvgpr_read_b32 v31, a253                               // 00000000AB48: D3D8401F 180001FD
	v_mul_f32_e32 v30, s47, v30                                // 00000000AB50: 0A3C3C2F
	v_mul_f32_e32 v31, s47, v31                                // 00000000AB54: 0A3E3E2F
	v_cmp_u_f32_e64 s[78:79], v30, v30                         // 00000000AB58: D048004E 00023D1E
	v_bfe_u32 v248, v30, 16, 1                                 // 00000000AB60: D1C800F8 0205211E
	v_add3_u32 v248, v30, v248, v251                           // 00000000AB68: D1FF00F8 07EFF11E
	v_cndmask_b32_e64 v28, v248, v250, s[78:79]                // 00000000AB70: D100001C 013BF5F8
	v_lshrrev_b32_e32 v28, 16, v28                             // 00000000AB78: 20383890
	v_cmp_u_f32_e64 s[78:79], v31, v31                         // 00000000AB7C: D048004E 00023F1F
	v_bfe_u32 v248, v31, 16, 1                                 // 00000000AB84: D1C800F8 0205211F
	v_add3_u32 v248, v31, v248, v251                           // 00000000AB8C: D1FF00F8 07EFF11F
	v_cndmask_b32_e64 v29, v248, v250, s[78:79]                // 00000000AB94: D100001D 013BF5F8
	v_and_or_b32 v94, v29, v249, v28                           // 00000000AB9C: D201005E 0473F31D
	v_accvgpr_read_b32 v30, a254                               // 00000000ABA4: D3D8401E 180001FE
	v_accvgpr_read_b32 v31, a255                               // 00000000ABAC: D3D8401F 180001FF
	v_mul_f32_e32 v30, s47, v30                                // 00000000ABB4: 0A3C3C2F
	v_mul_f32_e32 v31, s47, v31                                // 00000000ABB8: 0A3E3E2F
	v_cmp_u_f32_e64 s[78:79], v30, v30                         // 00000000ABBC: D048004E 00023D1E
	v_bfe_u32 v248, v30, 16, 1                                 // 00000000ABC4: D1C800F8 0205211E
	v_add3_u32 v248, v30, v248, v251                           // 00000000ABCC: D1FF00F8 07EFF11E
	v_cndmask_b32_e64 v28, v248, v250, s[78:79]                // 00000000ABD4: D100001C 013BF5F8
	v_lshrrev_b32_e32 v28, 16, v28                             // 00000000ABDC: 20383890
	v_cmp_u_f32_e64 s[78:79], v31, v31                         // 00000000ABE0: D048004E 00023F1F
	v_bfe_u32 v248, v31, 16, 1                                 // 00000000ABE8: D1C800F8 0205211F
	v_add3_u32 v248, v31, v248, v251                           // 00000000ABF0: D1FF00F8 07EFF11F
	v_cndmask_b32_e64 v29, v248, v250, s[78:79]                // 00000000ABF8: D100001D 013BF5F8
	v_and_or_b32 v95, v29, v249, v28                           // 00000000AC00: D201005F 0473F31D
	ds_write_b64 v25, v[80:81] offset:33792                    // 00000000AC08: D89A8400 00005019
	ds_write_b64 v25, v[82:83] offset:34320                    // 00000000AC10: D89A8610 00005219
	ds_write_b64 v25, v[84:85] offset:34848                    // 00000000AC18: D89A8820 00005419
	ds_write_b64 v25, v[86:87] offset:35376                    // 00000000AC20: D89A8A30 00005619
	ds_write_b64 v25, v[88:89] offset:35904                    // 00000000AC28: D89A8C40 00005819
	ds_write_b64 v25, v[90:91] offset:36432                    // 00000000AC30: D89A8E50 00005A19
	ds_write_b64 v25, v[92:93] offset:36960                    // 00000000AC38: D89A9060 00005C19
	ds_write_b64 v25, v[94:95] offset:37488                    // 00000000AC40: D89A9270 00005E19
	s_waitcnt lgkmcnt(0)                                       // 00000000AC48: BF8CC07F
	s_barrier                                                  // 00000000AC4C: BF8A0000
	ds_read_b64 v[80:81], v24 offset:33792                     // 00000000AC50: D8EC8400 50000018
	ds_read_b64 v[82:83], v24 offset:33920                     // 00000000AC58: D8EC8480 52000018
	ds_read_b64 v[84:85], v24 offset:33824                     // 00000000AC60: D8EC8420 54000018
	ds_read_b64 v[86:87], v24 offset:33952                     // 00000000AC68: D8EC84A0 56000018
	ds_read_b64 v[88:89], v24 offset:33856                     // 00000000AC70: D8EC8440 58000018
	ds_read_b64 v[90:91], v24 offset:33984                     // 00000000AC78: D8EC84C0 5A000018
	ds_read_b64 v[92:93], v24 offset:33888                     // 00000000AC80: D8EC8460 5C000018
	ds_read_b64 v[94:95], v24 offset:34016                     // 00000000AC88: D8EC84E0 5E000018
	s_waitcnt lgkmcnt(0)                                       // 00000000AC90: BF8CC07F
	s_mov_b32 s70, s52                                         // 00000000AC94: BEC60034
	buffer_store_dwordx4 v[80:83], v5, s[36:39], 0 idxen       // 00000000AC98: E07C2000 80095005
	v_add_u32_e32 v5, s70, v5                                  // 00000000ACA0: 680A0A46
	buffer_store_dwordx4 v[84:87], v5, s[36:39], 0 idxen       // 00000000ACA4: E07C2000 80095405
	v_add_u32_e32 v5, s70, v5                                  // 00000000ACAC: 680A0A46
	buffer_store_dwordx4 v[88:91], v5, s[36:39], 0 idxen       // 00000000ACB0: E07C2000 80095805
	v_add_u32_e32 v5, s70, v5                                  // 00000000ACB8: 680A0A46
	buffer_store_dwordx4 v[92:95], v5, s[36:39], 0 idxen       // 00000000ACBC: E07C2000 80095C05
	v_add_u32_e32 v5, s70, v5                                  // 00000000ACC4: 680A0A46
	s_mul_i32 s60, 12, s70                                     // 00000000ACC8: 923C468C
	v_add_u32_e32 v5, s60, v5                                  // 00000000ACCC: 680A0A3C
	s_barrier                                                  // 00000000ACD0: BF8A0000
	s_cmp_ge_i32 3, s72                                        // 00000000ACD4: BF034883
	s_cbranch_scc1 label_1BCB                                  // 00000000ACD8: BF850000

000000000000acdc <label_1BCB>:
	v_mov_b32_e32 v30, v152                                    // 00000000ACDC: 7E3C0398
	v_mov_b32_e32 v31, v153                                    // 00000000ACE0: 7E3E0399
	v_cmp_u_f32_e64 s[78:79], v30, v30                         // 00000000ACE4: D048004E 00023D1E
	v_bfe_u32 v248, v30, 16, 1                                 // 00000000ACEC: D1C800F8 0205211E
	v_add3_u32 v248, v30, v248, v251                           // 00000000ACF4: D1FF00F8 07EFF11E
	v_cndmask_b32_e64 v28, v248, v250, s[78:79]                // 00000000ACFC: D100001C 013BF5F8
	v_lshrrev_b32_e32 v28, 16, v28                             // 00000000AD04: 20383890
	v_cmp_u_f32_e64 s[78:79], v31, v31                         // 00000000AD08: D048004E 00023F1F
	v_bfe_u32 v248, v31, 16, 1                                 // 00000000AD10: D1C800F8 0205211F
	v_add3_u32 v248, v31, v248, v251                           // 00000000AD18: D1FF00F8 07EFF11F
	v_cndmask_b32_e64 v29, v248, v250, s[78:79]                // 00000000AD20: D100001D 013BF5F8
	v_and_or_b32 v152, v29, v249, v28                          // 00000000AD28: D2010098 0473F31D
	v_mov_b32_e32 v30, v154                                    // 00000000AD30: 7E3C039A
	v_mov_b32_e32 v31, v155                                    // 00000000AD34: 7E3E039B
	v_cmp_u_f32_e64 s[78:79], v30, v30                         // 00000000AD38: D048004E 00023D1E
	v_bfe_u32 v248, v30, 16, 1                                 // 00000000AD40: D1C800F8 0205211E
	v_add3_u32 v248, v30, v248, v251                           // 00000000AD48: D1FF00F8 07EFF11E
	v_cndmask_b32_e64 v28, v248, v250, s[78:79]                // 00000000AD50: D100001C 013BF5F8
	v_lshrrev_b32_e32 v28, 16, v28                             // 00000000AD58: 20383890
	v_cmp_u_f32_e64 s[78:79], v31, v31                         // 00000000AD5C: D048004E 00023F1F
	v_bfe_u32 v248, v31, 16, 1                                 // 00000000AD64: D1C800F8 0205211F
	v_add3_u32 v248, v31, v248, v251                           // 00000000AD6C: D1FF00F8 07EFF11F
	v_cndmask_b32_e64 v29, v248, v250, s[78:79]                // 00000000AD74: D100001D 013BF5F8
	v_and_or_b32 v153, v29, v249, v28                          // 00000000AD7C: D2010099 0473F31D
	v_mov_b32_e32 v30, v156                                    // 00000000AD84: 7E3C039C
	v_mov_b32_e32 v31, v157                                    // 00000000AD88: 7E3E039D
	v_cmp_u_f32_e64 s[78:79], v30, v30                         // 00000000AD8C: D048004E 00023D1E
	v_bfe_u32 v248, v30, 16, 1                                 // 00000000AD94: D1C800F8 0205211E
	v_add3_u32 v248, v30, v248, v251                           // 00000000AD9C: D1FF00F8 07EFF11E
	v_cndmask_b32_e64 v28, v248, v250, s[78:79]                // 00000000ADA4: D100001C 013BF5F8
	v_lshrrev_b32_e32 v28, 16, v28                             // 00000000ADAC: 20383890
	v_cmp_u_f32_e64 s[78:79], v31, v31                         // 00000000ADB0: D048004E 00023F1F
	v_bfe_u32 v248, v31, 16, 1                                 // 00000000ADB8: D1C800F8 0205211F
	v_add3_u32 v248, v31, v248, v251                           // 00000000ADC0: D1FF00F8 07EFF11F
	v_cndmask_b32_e64 v29, v248, v250, s[78:79]                // 00000000ADC8: D100001D 013BF5F8
	v_and_or_b32 v154, v29, v249, v28                          // 00000000ADD0: D201009A 0473F31D
	v_mov_b32_e32 v30, v158                                    // 00000000ADD8: 7E3C039E
	v_mov_b32_e32 v31, v159                                    // 00000000ADDC: 7E3E039F
	v_cmp_u_f32_e64 s[78:79], v30, v30                         // 00000000ADE0: D048004E 00023D1E
	v_bfe_u32 v248, v30, 16, 1                                 // 00000000ADE8: D1C800F8 0205211E
	v_add3_u32 v248, v30, v248, v251                           // 00000000ADF0: D1FF00F8 07EFF11E
	v_cndmask_b32_e64 v28, v248, v250, s[78:79]                // 00000000ADF8: D100001C 013BF5F8
	v_lshrrev_b32_e32 v28, 16, v28                             // 00000000AE00: 20383890
	v_cmp_u_f32_e64 s[78:79], v31, v31                         // 00000000AE04: D048004E 00023F1F
	v_bfe_u32 v248, v31, 16, 1                                 // 00000000AE0C: D1C800F8 0205211F
	v_add3_u32 v248, v31, v248, v251                           // 00000000AE14: D1FF00F8 07EFF11F
	v_cndmask_b32_e64 v29, v248, v250, s[78:79]                // 00000000AE1C: D100001D 013BF5F8
	v_and_or_b32 v155, v29, v249, v28                          // 00000000AE24: D201009B 0473F31D
	v_mov_b32_e32 v30, v160                                    // 00000000AE2C: 7E3C03A0
	v_mov_b32_e32 v31, v161                                    // 00000000AE30: 7E3E03A1
	v_cmp_u_f32_e64 s[78:79], v30, v30                         // 00000000AE34: D048004E 00023D1E
	v_bfe_u32 v248, v30, 16, 1                                 // 00000000AE3C: D1C800F8 0205211E
	v_add3_u32 v248, v30, v248, v251                           // 00000000AE44: D1FF00F8 07EFF11E
	v_cndmask_b32_e64 v28, v248, v250, s[78:79]                // 00000000AE4C: D100001C 013BF5F8
	v_lshrrev_b32_e32 v28, 16, v28                             // 00000000AE54: 20383890
	v_cmp_u_f32_e64 s[78:79], v31, v31                         // 00000000AE58: D048004E 00023F1F
	v_bfe_u32 v248, v31, 16, 1                                 // 00000000AE60: D1C800F8 0205211F
	v_add3_u32 v248, v31, v248, v251                           // 00000000AE68: D1FF00F8 07EFF11F
	v_cndmask_b32_e64 v29, v248, v250, s[78:79]                // 00000000AE70: D100001D 013BF5F8
	v_and_or_b32 v156, v29, v249, v28                          // 00000000AE78: D201009C 0473F31D
	v_mov_b32_e32 v30, v162                                    // 00000000AE80: 7E3C03A2
	v_mov_b32_e32 v31, v163                                    // 00000000AE84: 7E3E03A3
	v_cmp_u_f32_e64 s[78:79], v30, v30                         // 00000000AE88: D048004E 00023D1E
	v_bfe_u32 v248, v30, 16, 1                                 // 00000000AE90: D1C800F8 0205211E
	v_add3_u32 v248, v30, v248, v251                           // 00000000AE98: D1FF00F8 07EFF11E
	v_cndmask_b32_e64 v28, v248, v250, s[78:79]                // 00000000AEA0: D100001C 013BF5F8
	v_lshrrev_b32_e32 v28, 16, v28                             // 00000000AEA8: 20383890
	v_cmp_u_f32_e64 s[78:79], v31, v31                         // 00000000AEAC: D048004E 00023F1F
	v_bfe_u32 v248, v31, 16, 1                                 // 00000000AEB4: D1C800F8 0205211F
	v_add3_u32 v248, v31, v248, v251                           // 00000000AEBC: D1FF00F8 07EFF11F
	v_cndmask_b32_e64 v29, v248, v250, s[78:79]                // 00000000AEC4: D100001D 013BF5F8
	v_and_or_b32 v157, v29, v249, v28                          // 00000000AECC: D201009D 0473F31D
	v_mov_b32_e32 v30, v164                                    // 00000000AED4: 7E3C03A4
	v_mov_b32_e32 v31, v165                                    // 00000000AED8: 7E3E03A5
	v_cmp_u_f32_e64 s[78:79], v30, v30                         // 00000000AEDC: D048004E 00023D1E
	v_bfe_u32 v248, v30, 16, 1                                 // 00000000AEE4: D1C800F8 0205211E
	v_add3_u32 v248, v30, v248, v251                           // 00000000AEEC: D1FF00F8 07EFF11E
	v_cndmask_b32_e64 v28, v248, v250, s[78:79]                // 00000000AEF4: D100001C 013BF5F8
	v_lshrrev_b32_e32 v28, 16, v28                             // 00000000AEFC: 20383890
	v_cmp_u_f32_e64 s[78:79], v31, v31                         // 00000000AF00: D048004E 00023F1F
	v_bfe_u32 v248, v31, 16, 1                                 // 00000000AF08: D1C800F8 0205211F
	v_add3_u32 v248, v31, v248, v251                           // 00000000AF10: D1FF00F8 07EFF11F
	v_cndmask_b32_e64 v29, v248, v250, s[78:79]                // 00000000AF18: D100001D 013BF5F8
	v_and_or_b32 v158, v29, v249, v28                          // 00000000AF20: D201009E 0473F31D
	v_mov_b32_e32 v30, v166                                    // 00000000AF28: 7E3C03A6
	v_mov_b32_e32 v31, v167                                    // 00000000AF2C: 7E3E03A7
	v_cmp_u_f32_e64 s[78:79], v30, v30                         // 00000000AF30: D048004E 00023D1E
	v_bfe_u32 v248, v30, 16, 1                                 // 00000000AF38: D1C800F8 0205211E
	v_add3_u32 v248, v30, v248, v251                           // 00000000AF40: D1FF00F8 07EFF11E
	v_cndmask_b32_e64 v28, v248, v250, s[78:79]                // 00000000AF48: D100001C 013BF5F8
	v_lshrrev_b32_e32 v28, 16, v28                             // 00000000AF50: 20383890
	v_cmp_u_f32_e64 s[78:79], v31, v31                         // 00000000AF54: D048004E 00023F1F
	v_bfe_u32 v248, v31, 16, 1                                 // 00000000AF5C: D1C800F8 0205211F
	v_add3_u32 v248, v31, v248, v251                           // 00000000AF64: D1FF00F8 07EFF11F
	v_cndmask_b32_e64 v29, v248, v250, s[78:79]                // 00000000AF6C: D100001D 013BF5F8
	v_and_or_b32 v159, v29, v249, v28                          // 00000000AF74: D201009F 0473F31D
	v_mov_b32_e32 v30, v168                                    // 00000000AF7C: 7E3C03A8
	v_mov_b32_e32 v31, v169                                    // 00000000AF80: 7E3E03A9
	v_cmp_u_f32_e64 s[78:79], v30, v30                         // 00000000AF84: D048004E 00023D1E
	v_bfe_u32 v248, v30, 16, 1                                 // 00000000AF8C: D1C800F8 0205211E
	v_add3_u32 v248, v30, v248, v251                           // 00000000AF94: D1FF00F8 07EFF11E
	v_cndmask_b32_e64 v28, v248, v250, s[78:79]                // 00000000AF9C: D100001C 013BF5F8
	v_lshrrev_b32_e32 v28, 16, v28                             // 00000000AFA4: 20383890
	v_cmp_u_f32_e64 s[78:79], v31, v31                         // 00000000AFA8: D048004E 00023F1F
	v_bfe_u32 v248, v31, 16, 1                                 // 00000000AFB0: D1C800F8 0205211F
	v_add3_u32 v248, v31, v248, v251                           // 00000000AFB8: D1FF00F8 07EFF11F
	v_cndmask_b32_e64 v29, v248, v250, s[78:79]                // 00000000AFC0: D100001D 013BF5F8
	v_and_or_b32 v160, v29, v249, v28                          // 00000000AFC8: D20100A0 0473F31D
	v_mov_b32_e32 v30, v170                                    // 00000000AFD0: 7E3C03AA
	v_mov_b32_e32 v31, v171                                    // 00000000AFD4: 7E3E03AB
	v_cmp_u_f32_e64 s[78:79], v30, v30                         // 00000000AFD8: D048004E 00023D1E
	v_bfe_u32 v248, v30, 16, 1                                 // 00000000AFE0: D1C800F8 0205211E
	v_add3_u32 v248, v30, v248, v251                           // 00000000AFE8: D1FF00F8 07EFF11E
	v_cndmask_b32_e64 v28, v248, v250, s[78:79]                // 00000000AFF0: D100001C 013BF5F8
	v_lshrrev_b32_e32 v28, 16, v28                             // 00000000AFF8: 20383890
	v_cmp_u_f32_e64 s[78:79], v31, v31                         // 00000000AFFC: D048004E 00023F1F
	v_bfe_u32 v248, v31, 16, 1                                 // 00000000B004: D1C800F8 0205211F
	v_add3_u32 v248, v31, v248, v251                           // 00000000B00C: D1FF00F8 07EFF11F
	v_cndmask_b32_e64 v29, v248, v250, s[78:79]                // 00000000B014: D100001D 013BF5F8
	v_and_or_b32 v161, v29, v249, v28                          // 00000000B01C: D20100A1 0473F31D
	v_mov_b32_e32 v30, v172                                    // 00000000B024: 7E3C03AC
	v_mov_b32_e32 v31, v173                                    // 00000000B028: 7E3E03AD
	v_cmp_u_f32_e64 s[78:79], v30, v30                         // 00000000B02C: D048004E 00023D1E
	v_bfe_u32 v248, v30, 16, 1                                 // 00000000B034: D1C800F8 0205211E
	v_add3_u32 v248, v30, v248, v251                           // 00000000B03C: D1FF00F8 07EFF11E
	v_cndmask_b32_e64 v28, v248, v250, s[78:79]                // 00000000B044: D100001C 013BF5F8
	v_lshrrev_b32_e32 v28, 16, v28                             // 00000000B04C: 20383890
	v_cmp_u_f32_e64 s[78:79], v31, v31                         // 00000000B050: D048004E 00023F1F
	v_bfe_u32 v248, v31, 16, 1                                 // 00000000B058: D1C800F8 0205211F
	v_add3_u32 v248, v31, v248, v251                           // 00000000B060: D1FF00F8 07EFF11F
	v_cndmask_b32_e64 v29, v248, v250, s[78:79]                // 00000000B068: D100001D 013BF5F8
	v_and_or_b32 v162, v29, v249, v28                          // 00000000B070: D20100A2 0473F31D
	v_mov_b32_e32 v30, v174                                    // 00000000B078: 7E3C03AE
	v_mov_b32_e32 v31, v175                                    // 00000000B07C: 7E3E03AF
	v_cmp_u_f32_e64 s[78:79], v30, v30                         // 00000000B080: D048004E 00023D1E
	v_bfe_u32 v248, v30, 16, 1                                 // 00000000B088: D1C800F8 0205211E
	v_add3_u32 v248, v30, v248, v251                           // 00000000B090: D1FF00F8 07EFF11E
	v_cndmask_b32_e64 v28, v248, v250, s[78:79]                // 00000000B098: D100001C 013BF5F8
	v_lshrrev_b32_e32 v28, 16, v28                             // 00000000B0A0: 20383890
	v_cmp_u_f32_e64 s[78:79], v31, v31                         // 00000000B0A4: D048004E 00023F1F
	v_bfe_u32 v248, v31, 16, 1                                 // 00000000B0AC: D1C800F8 0205211F
	v_add3_u32 v248, v31, v248, v251                           // 00000000B0B4: D1FF00F8 07EFF11F
	v_cndmask_b32_e64 v29, v248, v250, s[78:79]                // 00000000B0BC: D100001D 013BF5F8
	v_and_or_b32 v163, v29, v249, v28                          // 00000000B0C4: D20100A3 0473F31D
	v_mov_b32_e32 v30, v176                                    // 00000000B0CC: 7E3C03B0
	v_mov_b32_e32 v31, v177                                    // 00000000B0D0: 7E3E03B1
	v_cmp_u_f32_e64 s[78:79], v30, v30                         // 00000000B0D4: D048004E 00023D1E
	v_bfe_u32 v248, v30, 16, 1                                 // 00000000B0DC: D1C800F8 0205211E
	v_add3_u32 v248, v30, v248, v251                           // 00000000B0E4: D1FF00F8 07EFF11E
	v_cndmask_b32_e64 v28, v248, v250, s[78:79]                // 00000000B0EC: D100001C 013BF5F8
	v_lshrrev_b32_e32 v28, 16, v28                             // 00000000B0F4: 20383890
	v_cmp_u_f32_e64 s[78:79], v31, v31                         // 00000000B0F8: D048004E 00023F1F
	v_bfe_u32 v248, v31, 16, 1                                 // 00000000B100: D1C800F8 0205211F
	v_add3_u32 v248, v31, v248, v251                           // 00000000B108: D1FF00F8 07EFF11F
	v_cndmask_b32_e64 v29, v248, v250, s[78:79]                // 00000000B110: D100001D 013BF5F8
	v_and_or_b32 v164, v29, v249, v28                          // 00000000B118: D20100A4 0473F31D
	v_mov_b32_e32 v30, v178                                    // 00000000B120: 7E3C03B2
	v_mov_b32_e32 v31, v179                                    // 00000000B124: 7E3E03B3
	v_cmp_u_f32_e64 s[78:79], v30, v30                         // 00000000B128: D048004E 00023D1E
	v_bfe_u32 v248, v30, 16, 1                                 // 00000000B130: D1C800F8 0205211E
	v_add3_u32 v248, v30, v248, v251                           // 00000000B138: D1FF00F8 07EFF11E
	v_cndmask_b32_e64 v28, v248, v250, s[78:79]                // 00000000B140: D100001C 013BF5F8
	v_lshrrev_b32_e32 v28, 16, v28                             // 00000000B148: 20383890
	v_cmp_u_f32_e64 s[78:79], v31, v31                         // 00000000B14C: D048004E 00023F1F
	v_bfe_u32 v248, v31, 16, 1                                 // 00000000B154: D1C800F8 0205211F
	v_add3_u32 v248, v31, v248, v251                           // 00000000B15C: D1FF00F8 07EFF11F
	v_cndmask_b32_e64 v29, v248, v250, s[78:79]                // 00000000B164: D100001D 013BF5F8
	v_and_or_b32 v165, v29, v249, v28                          // 00000000B16C: D20100A5 0473F31D
	v_mov_b32_e32 v30, v180                                    // 00000000B174: 7E3C03B4
	v_mov_b32_e32 v31, v181                                    // 00000000B178: 7E3E03B5
	v_cmp_u_f32_e64 s[78:79], v30, v30                         // 00000000B17C: D048004E 00023D1E
	v_bfe_u32 v248, v30, 16, 1                                 // 00000000B184: D1C800F8 0205211E
	v_add3_u32 v248, v30, v248, v251                           // 00000000B18C: D1FF00F8 07EFF11E
	v_cndmask_b32_e64 v28, v248, v250, s[78:79]                // 00000000B194: D100001C 013BF5F8
	v_lshrrev_b32_e32 v28, 16, v28                             // 00000000B19C: 20383890
	v_cmp_u_f32_e64 s[78:79], v31, v31                         // 00000000B1A0: D048004E 00023F1F
	v_bfe_u32 v248, v31, 16, 1                                 // 00000000B1A8: D1C800F8 0205211F
	v_add3_u32 v248, v31, v248, v251                           // 00000000B1B0: D1FF00F8 07EFF11F
	v_cndmask_b32_e64 v29, v248, v250, s[78:79]                // 00000000B1B8: D100001D 013BF5F8
	v_and_or_b32 v166, v29, v249, v28                          // 00000000B1C0: D20100A6 0473F31D
	v_mov_b32_e32 v30, v182                                    // 00000000B1C8: 7E3C03B6
	v_mov_b32_e32 v31, v183                                    // 00000000B1CC: 7E3E03B7
	v_cmp_u_f32_e64 s[78:79], v30, v30                         // 00000000B1D0: D048004E 00023D1E
	v_bfe_u32 v248, v30, 16, 1                                 // 00000000B1D8: D1C800F8 0205211E
	v_add3_u32 v248, v30, v248, v251                           // 00000000B1E0: D1FF00F8 07EFF11E
	v_cndmask_b32_e64 v28, v248, v250, s[78:79]                // 00000000B1E8: D100001C 013BF5F8
	v_lshrrev_b32_e32 v28, 16, v28                             // 00000000B1F0: 20383890
	v_cmp_u_f32_e64 s[78:79], v31, v31                         // 00000000B1F4: D048004E 00023F1F
	v_bfe_u32 v248, v31, 16, 1                                 // 00000000B1FC: D1C800F8 0205211F
	v_add3_u32 v248, v31, v248, v251                           // 00000000B204: D1FF00F8 07EFF11F
	v_cndmask_b32_e64 v29, v248, v250, s[78:79]                // 00000000B20C: D100001D 013BF5F8
	v_and_or_b32 v167, v29, v249, v28                          // 00000000B214: D20100A7 0473F31D
	ds_write_b64 v25, v[152:153]                               // 00000000B21C: D89A0000 00009819
	ds_write_b64 v25, v[154:155] offset:528                    // 00000000B224: D89A0210 00009A19
	ds_write_b64 v25, v[156:157] offset:1056                   // 00000000B22C: D89A0420 00009C19
	ds_write_b64 v25, v[158:159] offset:1584                   // 00000000B234: D89A0630 00009E19
	ds_write_b64 v25, v[160:161] offset:2112                   // 00000000B23C: D89A0840 0000A019
	ds_write_b64 v25, v[162:163] offset:2640                   // 00000000B244: D89A0A50 0000A219
	ds_write_b64 v25, v[164:165] offset:3168                   // 00000000B24C: D89A0C60 0000A419
	ds_write_b64 v25, v[166:167] offset:3696                   // 00000000B254: D89A0E70 0000A619
	s_waitcnt lgkmcnt(0)                                       // 00000000B25C: BF8CC07F
	s_barrier                                                  // 00000000B260: BF8A0000
	ds_read_b64 v[152:153], v24                                // 00000000B264: D8EC0000 98000018
	ds_read_b64 v[154:155], v24 offset:128                     // 00000000B26C: D8EC0080 9A000018
	ds_read_b64 v[156:157], v24 offset:32                      // 00000000B274: D8EC0020 9C000018
	ds_read_b64 v[158:159], v24 offset:160                     // 00000000B27C: D8EC00A0 9E000018
	ds_read_b64 v[160:161], v24 offset:64                      // 00000000B284: D8EC0040 A0000018
	ds_read_b64 v[162:163], v24 offset:192                     // 00000000B28C: D8EC00C0 A2000018
	ds_read_b64 v[164:165], v24 offset:96                      // 00000000B294: D8EC0060 A4000018
	ds_read_b64 v[166:167], v24 offset:224                     // 00000000B29C: D8EC00E0 A6000018
	s_waitcnt lgkmcnt(0)                                       // 00000000B2A4: BF8CC07F
	s_mov_b32 s70, s53                                         // 00000000B2A8: BEC60035
	buffer_store_dwordx4 v[152:155], v6, s[40:43], 0 idxen     // 00000000B2AC: E07C2000 800A9806
	v_add_u32_e32 v6, s70, v6                                  // 00000000B2B4: 680C0C46
	buffer_store_dwordx4 v[156:159], v6, s[40:43], 0 idxen     // 00000000B2B8: E07C2000 800A9C06
	v_add_u32_e32 v6, s70, v6                                  // 00000000B2C0: 680C0C46
	buffer_store_dwordx4 v[160:163], v6, s[40:43], 0 idxen     // 00000000B2C4: E07C2000 800AA006
	v_add_u32_e32 v6, s70, v6                                  // 00000000B2CC: 680C0C46
	buffer_store_dwordx4 v[164:167], v6, s[40:43], 0 idxen     // 00000000B2D0: E07C2000 800AA406
	v_add_u32_e32 v6, s70, v6                                  // 00000000B2D8: 680C0C46
	s_mul_i32 s60, 12, s70                                     // 00000000B2DC: 923C468C
	v_add_u32_e32 v6, s60, v6                                  // 00000000B2E0: 680C0C3C
	s_cmp_ge_i32 1, s72                                        // 00000000B2E4: BF034881
	s_cbranch_scc1 label_2057                                  // 00000000B2E8: BF850308
	v_mov_b32_e32 v30, v184                                    // 00000000B2EC: 7E3C03B8
	v_mov_b32_e32 v31, v185                                    // 00000000B2F0: 7E3E03B9
	v_cmp_u_f32_e64 s[78:79], v30, v30                         // 00000000B2F4: D048004E 00023D1E
	v_bfe_u32 v248, v30, 16, 1                                 // 00000000B2FC: D1C800F8 0205211E
	v_add3_u32 v248, v30, v248, v251                           // 00000000B304: D1FF00F8 07EFF11E
	v_cndmask_b32_e64 v28, v248, v250, s[78:79]                // 00000000B30C: D100001C 013BF5F8
	v_lshrrev_b32_e32 v28, 16, v28                             // 00000000B314: 20383890
	v_cmp_u_f32_e64 s[78:79], v31, v31                         // 00000000B318: D048004E 00023F1F
	v_bfe_u32 v248, v31, 16, 1                                 // 00000000B320: D1C800F8 0205211F
	v_add3_u32 v248, v31, v248, v251                           // 00000000B328: D1FF00F8 07EFF11F
	v_cndmask_b32_e64 v29, v248, v250, s[78:79]                // 00000000B330: D100001D 013BF5F8
	v_and_or_b32 v168, v29, v249, v28                          // 00000000B338: D20100A8 0473F31D
	v_mov_b32_e32 v30, v186                                    // 00000000B340: 7E3C03BA
	v_mov_b32_e32 v31, v187                                    // 00000000B344: 7E3E03BB
	v_cmp_u_f32_e64 s[78:79], v30, v30                         // 00000000B348: D048004E 00023D1E
	v_bfe_u32 v248, v30, 16, 1                                 // 00000000B350: D1C800F8 0205211E
	v_add3_u32 v248, v30, v248, v251                           // 00000000B358: D1FF00F8 07EFF11E
	v_cndmask_b32_e64 v28, v248, v250, s[78:79]                // 00000000B360: D100001C 013BF5F8
	v_lshrrev_b32_e32 v28, 16, v28                             // 00000000B368: 20383890
	v_cmp_u_f32_e64 s[78:79], v31, v31                         // 00000000B36C: D048004E 00023F1F
	v_bfe_u32 v248, v31, 16, 1                                 // 00000000B374: D1C800F8 0205211F
	v_add3_u32 v248, v31, v248, v251                           // 00000000B37C: D1FF00F8 07EFF11F
	v_cndmask_b32_e64 v29, v248, v250, s[78:79]                // 00000000B384: D100001D 013BF5F8
	v_and_or_b32 v169, v29, v249, v28                          // 00000000B38C: D20100A9 0473F31D
	v_mov_b32_e32 v30, v188                                    // 00000000B394: 7E3C03BC
	v_mov_b32_e32 v31, v189                                    // 00000000B398: 7E3E03BD
	v_cmp_u_f32_e64 s[78:79], v30, v30                         // 00000000B39C: D048004E 00023D1E
	v_bfe_u32 v248, v30, 16, 1                                 // 00000000B3A4: D1C800F8 0205211E
	v_add3_u32 v248, v30, v248, v251                           // 00000000B3AC: D1FF00F8 07EFF11E
	v_cndmask_b32_e64 v28, v248, v250, s[78:79]                // 00000000B3B4: D100001C 013BF5F8
	v_lshrrev_b32_e32 v28, 16, v28                             // 00000000B3BC: 20383890
	v_cmp_u_f32_e64 s[78:79], v31, v31                         // 00000000B3C0: D048004E 00023F1F
	v_bfe_u32 v248, v31, 16, 1                                 // 00000000B3C8: D1C800F8 0205211F
	v_add3_u32 v248, v31, v248, v251                           // 00000000B3D0: D1FF00F8 07EFF11F
	v_cndmask_b32_e64 v29, v248, v250, s[78:79]                // 00000000B3D8: D100001D 013BF5F8
	v_and_or_b32 v170, v29, v249, v28                          // 00000000B3E0: D20100AA 0473F31D
	v_mov_b32_e32 v30, v190                                    // 00000000B3E8: 7E3C03BE
	v_mov_b32_e32 v31, v191                                    // 00000000B3EC: 7E3E03BF
	v_cmp_u_f32_e64 s[78:79], v30, v30                         // 00000000B3F0: D048004E 00023D1E
	v_bfe_u32 v248, v30, 16, 1                                 // 00000000B3F8: D1C800F8 0205211E
	v_add3_u32 v248, v30, v248, v251                           // 00000000B400: D1FF00F8 07EFF11E
	v_cndmask_b32_e64 v28, v248, v250, s[78:79]                // 00000000B408: D100001C 013BF5F8
	v_lshrrev_b32_e32 v28, 16, v28                             // 00000000B410: 20383890
	v_cmp_u_f32_e64 s[78:79], v31, v31                         // 00000000B414: D048004E 00023F1F
	v_bfe_u32 v248, v31, 16, 1                                 // 00000000B41C: D1C800F8 0205211F
	v_add3_u32 v248, v31, v248, v251                           // 00000000B424: D1FF00F8 07EFF11F
	v_cndmask_b32_e64 v29, v248, v250, s[78:79]                // 00000000B42C: D100001D 013BF5F8
	v_and_or_b32 v171, v29, v249, v28                          // 00000000B434: D20100AB 0473F31D
	v_mov_b32_e32 v30, v192                                    // 00000000B43C: 7E3C03C0
	v_mov_b32_e32 v31, v193                                    // 00000000B440: 7E3E03C1
	v_cmp_u_f32_e64 s[78:79], v30, v30                         // 00000000B444: D048004E 00023D1E
	v_bfe_u32 v248, v30, 16, 1                                 // 00000000B44C: D1C800F8 0205211E
	v_add3_u32 v248, v30, v248, v251                           // 00000000B454: D1FF00F8 07EFF11E
	v_cndmask_b32_e64 v28, v248, v250, s[78:79]                // 00000000B45C: D100001C 013BF5F8
	v_lshrrev_b32_e32 v28, 16, v28                             // 00000000B464: 20383890
	v_cmp_u_f32_e64 s[78:79], v31, v31                         // 00000000B468: D048004E 00023F1F
	v_bfe_u32 v248, v31, 16, 1                                 // 00000000B470: D1C800F8 0205211F
	v_add3_u32 v248, v31, v248, v251                           // 00000000B478: D1FF00F8 07EFF11F
	v_cndmask_b32_e64 v29, v248, v250, s[78:79]                // 00000000B480: D100001D 013BF5F8
	v_and_or_b32 v172, v29, v249, v28                          // 00000000B488: D20100AC 0473F31D
	v_mov_b32_e32 v30, v194                                    // 00000000B490: 7E3C03C2
	v_mov_b32_e32 v31, v195                                    // 00000000B494: 7E3E03C3
	v_cmp_u_f32_e64 s[78:79], v30, v30                         // 00000000B498: D048004E 00023D1E
	v_bfe_u32 v248, v30, 16, 1                                 // 00000000B4A0: D1C800F8 0205211E
	v_add3_u32 v248, v30, v248, v251                           // 00000000B4A8: D1FF00F8 07EFF11E
	v_cndmask_b32_e64 v28, v248, v250, s[78:79]                // 00000000B4B0: D100001C 013BF5F8
	v_lshrrev_b32_e32 v28, 16, v28                             // 00000000B4B8: 20383890
	v_cmp_u_f32_e64 s[78:79], v31, v31                         // 00000000B4BC: D048004E 00023F1F
	v_bfe_u32 v248, v31, 16, 1                                 // 00000000B4C4: D1C800F8 0205211F
	v_add3_u32 v248, v31, v248, v251                           // 00000000B4CC: D1FF00F8 07EFF11F
	v_cndmask_b32_e64 v29, v248, v250, s[78:79]                // 00000000B4D4: D100001D 013BF5F8
	v_and_or_b32 v173, v29, v249, v28                          // 00000000B4DC: D20100AD 0473F31D
	v_mov_b32_e32 v30, v196                                    // 00000000B4E4: 7E3C03C4
	v_mov_b32_e32 v31, v197                                    // 00000000B4E8: 7E3E03C5
	v_cmp_u_f32_e64 s[78:79], v30, v30                         // 00000000B4EC: D048004E 00023D1E
	v_bfe_u32 v248, v30, 16, 1                                 // 00000000B4F4: D1C800F8 0205211E
	v_add3_u32 v248, v30, v248, v251                           // 00000000B4FC: D1FF00F8 07EFF11E
	v_cndmask_b32_e64 v28, v248, v250, s[78:79]                // 00000000B504: D100001C 013BF5F8
	v_lshrrev_b32_e32 v28, 16, v28                             // 00000000B50C: 20383890
	v_cmp_u_f32_e64 s[78:79], v31, v31                         // 00000000B510: D048004E 00023F1F
	v_bfe_u32 v248, v31, 16, 1                                 // 00000000B518: D1C800F8 0205211F
	v_add3_u32 v248, v31, v248, v251                           // 00000000B520: D1FF00F8 07EFF11F
	v_cndmask_b32_e64 v29, v248, v250, s[78:79]                // 00000000B528: D100001D 013BF5F8
	v_and_or_b32 v174, v29, v249, v28                          // 00000000B530: D20100AE 0473F31D
	v_mov_b32_e32 v30, v198                                    // 00000000B538: 7E3C03C6
	v_mov_b32_e32 v31, v199                                    // 00000000B53C: 7E3E03C7
	v_cmp_u_f32_e64 s[78:79], v30, v30                         // 00000000B540: D048004E 00023D1E
	v_bfe_u32 v248, v30, 16, 1                                 // 00000000B548: D1C800F8 0205211E
	v_add3_u32 v248, v30, v248, v251                           // 00000000B550: D1FF00F8 07EFF11E
	v_cndmask_b32_e64 v28, v248, v250, s[78:79]                // 00000000B558: D100001C 013BF5F8
	v_lshrrev_b32_e32 v28, 16, v28                             // 00000000B560: 20383890
	v_cmp_u_f32_e64 s[78:79], v31, v31                         // 00000000B564: D048004E 00023F1F
	v_bfe_u32 v248, v31, 16, 1                                 // 00000000B56C: D1C800F8 0205211F
	v_add3_u32 v248, v31, v248, v251                           // 00000000B574: D1FF00F8 07EFF11F
	v_cndmask_b32_e64 v29, v248, v250, s[78:79]                // 00000000B57C: D100001D 013BF5F8
	v_and_or_b32 v175, v29, v249, v28                          // 00000000B584: D20100AF 0473F31D
	v_mov_b32_e32 v30, v200                                    // 00000000B58C: 7E3C03C8
	v_mov_b32_e32 v31, v201                                    // 00000000B590: 7E3E03C9
	v_cmp_u_f32_e64 s[78:79], v30, v30                         // 00000000B594: D048004E 00023D1E
	v_bfe_u32 v248, v30, 16, 1                                 // 00000000B59C: D1C800F8 0205211E
	v_add3_u32 v248, v30, v248, v251                           // 00000000B5A4: D1FF00F8 07EFF11E
	v_cndmask_b32_e64 v28, v248, v250, s[78:79]                // 00000000B5AC: D100001C 013BF5F8
	v_lshrrev_b32_e32 v28, 16, v28                             // 00000000B5B4: 20383890
	v_cmp_u_f32_e64 s[78:79], v31, v31                         // 00000000B5B8: D048004E 00023F1F
	v_bfe_u32 v248, v31, 16, 1                                 // 00000000B5C0: D1C800F8 0205211F
	v_add3_u32 v248, v31, v248, v251                           // 00000000B5C8: D1FF00F8 07EFF11F
	v_cndmask_b32_e64 v29, v248, v250, s[78:79]                // 00000000B5D0: D100001D 013BF5F8
	v_and_or_b32 v176, v29, v249, v28                          // 00000000B5D8: D20100B0 0473F31D
	v_mov_b32_e32 v30, v202                                    // 00000000B5E0: 7E3C03CA
	v_mov_b32_e32 v31, v203                                    // 00000000B5E4: 7E3E03CB
	v_cmp_u_f32_e64 s[78:79], v30, v30                         // 00000000B5E8: D048004E 00023D1E
	v_bfe_u32 v248, v30, 16, 1                                 // 00000000B5F0: D1C800F8 0205211E
	v_add3_u32 v248, v30, v248, v251                           // 00000000B5F8: D1FF00F8 07EFF11E
	v_cndmask_b32_e64 v28, v248, v250, s[78:79]                // 00000000B600: D100001C 013BF5F8
	v_lshrrev_b32_e32 v28, 16, v28                             // 00000000B608: 20383890
	v_cmp_u_f32_e64 s[78:79], v31, v31                         // 00000000B60C: D048004E 00023F1F
	v_bfe_u32 v248, v31, 16, 1                                 // 00000000B614: D1C800F8 0205211F
	v_add3_u32 v248, v31, v248, v251                           // 00000000B61C: D1FF00F8 07EFF11F
	v_cndmask_b32_e64 v29, v248, v250, s[78:79]                // 00000000B624: D100001D 013BF5F8
	v_and_or_b32 v177, v29, v249, v28                          // 00000000B62C: D20100B1 0473F31D
	v_mov_b32_e32 v30, v204                                    // 00000000B634: 7E3C03CC
	v_mov_b32_e32 v31, v205                                    // 00000000B638: 7E3E03CD
	v_cmp_u_f32_e64 s[78:79], v30, v30                         // 00000000B63C: D048004E 00023D1E
	v_bfe_u32 v248, v30, 16, 1                                 // 00000000B644: D1C800F8 0205211E
	v_add3_u32 v248, v30, v248, v251                           // 00000000B64C: D1FF00F8 07EFF11E
	v_cndmask_b32_e64 v28, v248, v250, s[78:79]                // 00000000B654: D100001C 013BF5F8
	v_lshrrev_b32_e32 v28, 16, v28                             // 00000000B65C: 20383890
	v_cmp_u_f32_e64 s[78:79], v31, v31                         // 00000000B660: D048004E 00023F1F
	v_bfe_u32 v248, v31, 16, 1                                 // 00000000B668: D1C800F8 0205211F
	v_add3_u32 v248, v31, v248, v251                           // 00000000B670: D1FF00F8 07EFF11F
	v_cndmask_b32_e64 v29, v248, v250, s[78:79]                // 00000000B678: D100001D 013BF5F8
	v_and_or_b32 v178, v29, v249, v28                          // 00000000B680: D20100B2 0473F31D
	v_mov_b32_e32 v30, v206                                    // 00000000B688: 7E3C03CE
	v_mov_b32_e32 v31, v207                                    // 00000000B68C: 7E3E03CF
	v_cmp_u_f32_e64 s[78:79], v30, v30                         // 00000000B690: D048004E 00023D1E
	v_bfe_u32 v248, v30, 16, 1                                 // 00000000B698: D1C800F8 0205211E
	v_add3_u32 v248, v30, v248, v251                           // 00000000B6A0: D1FF00F8 07EFF11E
	v_cndmask_b32_e64 v28, v248, v250, s[78:79]                // 00000000B6A8: D100001C 013BF5F8
	v_lshrrev_b32_e32 v28, 16, v28                             // 00000000B6B0: 20383890
	v_cmp_u_f32_e64 s[78:79], v31, v31                         // 00000000B6B4: D048004E 00023F1F
	v_bfe_u32 v248, v31, 16, 1                                 // 00000000B6BC: D1C800F8 0205211F
	v_add3_u32 v248, v31, v248, v251                           // 00000000B6C4: D1FF00F8 07EFF11F
	v_cndmask_b32_e64 v29, v248, v250, s[78:79]                // 00000000B6CC: D100001D 013BF5F8
	v_and_or_b32 v179, v29, v249, v28                          // 00000000B6D4: D20100B3 0473F31D
	v_mov_b32_e32 v30, v208                                    // 00000000B6DC: 7E3C03D0
	v_mov_b32_e32 v31, v209                                    // 00000000B6E0: 7E3E03D1
	v_cmp_u_f32_e64 s[78:79], v30, v30                         // 00000000B6E4: D048004E 00023D1E
	v_bfe_u32 v248, v30, 16, 1                                 // 00000000B6EC: D1C800F8 0205211E
	v_add3_u32 v248, v30, v248, v251                           // 00000000B6F4: D1FF00F8 07EFF11E
	v_cndmask_b32_e64 v28, v248, v250, s[78:79]                // 00000000B6FC: D100001C 013BF5F8
	v_lshrrev_b32_e32 v28, 16, v28                             // 00000000B704: 20383890
	v_cmp_u_f32_e64 s[78:79], v31, v31                         // 00000000B708: D048004E 00023F1F
	v_bfe_u32 v248, v31, 16, 1                                 // 00000000B710: D1C800F8 0205211F
	v_add3_u32 v248, v31, v248, v251                           // 00000000B718: D1FF00F8 07EFF11F
	v_cndmask_b32_e64 v29, v248, v250, s[78:79]                // 00000000B720: D100001D 013BF5F8
	v_and_or_b32 v180, v29, v249, v28                          // 00000000B728: D20100B4 0473F31D
	v_mov_b32_e32 v30, v210                                    // 00000000B730: 7E3C03D2
	v_mov_b32_e32 v31, v211                                    // 00000000B734: 7E3E03D3
	v_cmp_u_f32_e64 s[78:79], v30, v30                         // 00000000B738: D048004E 00023D1E
	v_bfe_u32 v248, v30, 16, 1                                 // 00000000B740: D1C800F8 0205211E
	v_add3_u32 v248, v30, v248, v251                           // 00000000B748: D1FF00F8 07EFF11E
	v_cndmask_b32_e64 v28, v248, v250, s[78:79]                // 00000000B750: D100001C 013BF5F8
	v_lshrrev_b32_e32 v28, 16, v28                             // 00000000B758: 20383890
	v_cmp_u_f32_e64 s[78:79], v31, v31                         // 00000000B75C: D048004E 00023F1F
	v_bfe_u32 v248, v31, 16, 1                                 // 00000000B764: D1C800F8 0205211F
	v_add3_u32 v248, v31, v248, v251                           // 00000000B76C: D1FF00F8 07EFF11F
	v_cndmask_b32_e64 v29, v248, v250, s[78:79]                // 00000000B774: D100001D 013BF5F8
	v_and_or_b32 v181, v29, v249, v28                          // 00000000B77C: D20100B5 0473F31D
	v_mov_b32_e32 v30, v212                                    // 00000000B784: 7E3C03D4
	v_mov_b32_e32 v31, v213                                    // 00000000B788: 7E3E03D5
	v_cmp_u_f32_e64 s[78:79], v30, v30                         // 00000000B78C: D048004E 00023D1E
	v_bfe_u32 v248, v30, 16, 1                                 // 00000000B794: D1C800F8 0205211E
	v_add3_u32 v248, v30, v248, v251                           // 00000000B79C: D1FF00F8 07EFF11E
	v_cndmask_b32_e64 v28, v248, v250, s[78:79]                // 00000000B7A4: D100001C 013BF5F8
	v_lshrrev_b32_e32 v28, 16, v28                             // 00000000B7AC: 20383890
	v_cmp_u_f32_e64 s[78:79], v31, v31                         // 00000000B7B0: D048004E 00023F1F
	v_bfe_u32 v248, v31, 16, 1                                 // 00000000B7B8: D1C800F8 0205211F
	v_add3_u32 v248, v31, v248, v251                           // 00000000B7C0: D1FF00F8 07EFF11F
	v_cndmask_b32_e64 v29, v248, v250, s[78:79]                // 00000000B7C8: D100001D 013BF5F8
	v_and_or_b32 v182, v29, v249, v28                          // 00000000B7D0: D20100B6 0473F31D
	v_mov_b32_e32 v30, v214                                    // 00000000B7D8: 7E3C03D6
	v_mov_b32_e32 v31, v215                                    // 00000000B7DC: 7E3E03D7
	v_cmp_u_f32_e64 s[78:79], v30, v30                         // 00000000B7E0: D048004E 00023D1E
	v_bfe_u32 v248, v30, 16, 1                                 // 00000000B7E8: D1C800F8 0205211E
	v_add3_u32 v248, v30, v248, v251                           // 00000000B7F0: D1FF00F8 07EFF11E
	v_cndmask_b32_e64 v28, v248, v250, s[78:79]                // 00000000B7F8: D100001C 013BF5F8
	v_lshrrev_b32_e32 v28, 16, v28                             // 00000000B800: 20383890
	v_cmp_u_f32_e64 s[78:79], v31, v31                         // 00000000B804: D048004E 00023F1F
	v_bfe_u32 v248, v31, 16, 1                                 // 00000000B80C: D1C800F8 0205211F
	v_add3_u32 v248, v31, v248, v251                           // 00000000B814: D1FF00F8 07EFF11F
	v_cndmask_b32_e64 v29, v248, v250, s[78:79]                // 00000000B81C: D100001D 013BF5F8
	v_and_or_b32 v183, v29, v249, v28                          // 00000000B824: D20100B7 0473F31D
	ds_write_b64 v25, v[168:169] offset:16896                  // 00000000B82C: D89A4200 0000A819
	ds_write_b64 v25, v[170:171] offset:17424                  // 00000000B834: D89A4410 0000AA19
	ds_write_b64 v25, v[172:173] offset:17952                  // 00000000B83C: D89A4620 0000AC19
	ds_write_b64 v25, v[174:175] offset:18480                  // 00000000B844: D89A4830 0000AE19
	ds_write_b64 v25, v[176:177] offset:19008                  // 00000000B84C: D89A4A40 0000B019
	ds_write_b64 v25, v[178:179] offset:19536                  // 00000000B854: D89A4C50 0000B219
	ds_write_b64 v25, v[180:181] offset:20064                  // 00000000B85C: D89A4E60 0000B419
	ds_write_b64 v25, v[182:183] offset:20592                  // 00000000B864: D89A5070 0000B619
	s_waitcnt lgkmcnt(0)                                       // 00000000B86C: BF8CC07F
	s_barrier                                                  // 00000000B870: BF8A0000
	ds_read_b64 v[168:169], v24 offset:16896                   // 00000000B874: D8EC4200 A8000018
	ds_read_b64 v[170:171], v24 offset:17024                   // 00000000B87C: D8EC4280 AA000018
	ds_read_b64 v[172:173], v24 offset:16928                   // 00000000B884: D8EC4220 AC000018
	ds_read_b64 v[174:175], v24 offset:17056                   // 00000000B88C: D8EC42A0 AE000018
	ds_read_b64 v[176:177], v24 offset:16960                   // 00000000B894: D8EC4240 B0000018
	ds_read_b64 v[178:179], v24 offset:17088                   // 00000000B89C: D8EC42C0 B2000018
	ds_read_b64 v[180:181], v24 offset:16992                   // 00000000B8A4: D8EC4260 B4000018
	ds_read_b64 v[182:183], v24 offset:17120                   // 00000000B8AC: D8EC42E0 B6000018
	s_waitcnt lgkmcnt(0)                                       // 00000000B8B4: BF8CC07F
	s_mov_b32 s70, s53                                         // 00000000B8B8: BEC60035
	buffer_store_dwordx4 v[168:171], v6, s[40:43], 0 idxen     // 00000000B8BC: E07C2000 800AA806
	v_add_u32_e32 v6, s70, v6                                  // 00000000B8C4: 680C0C46
	buffer_store_dwordx4 v[172:175], v6, s[40:43], 0 idxen     // 00000000B8C8: E07C2000 800AAC06
	v_add_u32_e32 v6, s70, v6                                  // 00000000B8D0: 680C0C46
	buffer_store_dwordx4 v[176:179], v6, s[40:43], 0 idxen     // 00000000B8D4: E07C2000 800AB006
	v_add_u32_e32 v6, s70, v6                                  // 00000000B8DC: 680C0C46
	buffer_store_dwordx4 v[180:183], v6, s[40:43], 0 idxen     // 00000000B8E0: E07C2000 800AB406
	v_add_u32_e32 v6, s70, v6                                  // 00000000B8E8: 680C0C46
	s_mul_i32 s60, 12, s70                                     // 00000000B8EC: 923C468C
	v_add_u32_e32 v6, s60, v6                                  // 00000000B8F0: 680C0C3C
	s_cmp_ge_i32 2, s72                                        // 00000000B8F4: BF034882
	s_cbranch_scc1 label_2057                                  // 00000000B8F8: BF850184
	v_mov_b32_e32 v30, v216                                    // 00000000B8FC: 7E3C03D8
	v_mov_b32_e32 v31, v217                                    // 00000000B900: 7E3E03D9
	v_cmp_u_f32_e64 s[78:79], v30, v30                         // 00000000B904: D048004E 00023D1E
	v_bfe_u32 v248, v30, 16, 1                                 // 00000000B90C: D1C800F8 0205211E
	v_add3_u32 v248, v30, v248, v251                           // 00000000B914: D1FF00F8 07EFF11E
	v_cndmask_b32_e64 v28, v248, v250, s[78:79]                // 00000000B91C: D100001C 013BF5F8
	v_lshrrev_b32_e32 v28, 16, v28                             // 00000000B924: 20383890
	v_cmp_u_f32_e64 s[78:79], v31, v31                         // 00000000B928: D048004E 00023F1F
	v_bfe_u32 v248, v31, 16, 1                                 // 00000000B930: D1C800F8 0205211F
	v_add3_u32 v248, v31, v248, v251                           // 00000000B938: D1FF00F8 07EFF11F
	v_cndmask_b32_e64 v29, v248, v250, s[78:79]                // 00000000B940: D100001D 013BF5F8
	v_and_or_b32 v184, v29, v249, v28                          // 00000000B948: D20100B8 0473F31D
	v_mov_b32_e32 v30, v218                                    // 00000000B950: 7E3C03DA
	v_mov_b32_e32 v31, v219                                    // 00000000B954: 7E3E03DB
	v_cmp_u_f32_e64 s[78:79], v30, v30                         // 00000000B958: D048004E 00023D1E
	v_bfe_u32 v248, v30, 16, 1                                 // 00000000B960: D1C800F8 0205211E
	v_add3_u32 v248, v30, v248, v251                           // 00000000B968: D1FF00F8 07EFF11E
	v_cndmask_b32_e64 v28, v248, v250, s[78:79]                // 00000000B970: D100001C 013BF5F8
	v_lshrrev_b32_e32 v28, 16, v28                             // 00000000B978: 20383890
	v_cmp_u_f32_e64 s[78:79], v31, v31                         // 00000000B97C: D048004E 00023F1F
	v_bfe_u32 v248, v31, 16, 1                                 // 00000000B984: D1C800F8 0205211F
	v_add3_u32 v248, v31, v248, v251                           // 00000000B98C: D1FF00F8 07EFF11F
	v_cndmask_b32_e64 v29, v248, v250, s[78:79]                // 00000000B994: D100001D 013BF5F8
	v_and_or_b32 v185, v29, v249, v28                          // 00000000B99C: D20100B9 0473F31D
	v_mov_b32_e32 v30, v220                                    // 00000000B9A4: 7E3C03DC
	v_mov_b32_e32 v31, v221                                    // 00000000B9A8: 7E3E03DD
	v_cmp_u_f32_e64 s[78:79], v30, v30                         // 00000000B9AC: D048004E 00023D1E
	v_bfe_u32 v248, v30, 16, 1                                 // 00000000B9B4: D1C800F8 0205211E
	v_add3_u32 v248, v30, v248, v251                           // 00000000B9BC: D1FF00F8 07EFF11E
	v_cndmask_b32_e64 v28, v248, v250, s[78:79]                // 00000000B9C4: D100001C 013BF5F8
	v_lshrrev_b32_e32 v28, 16, v28                             // 00000000B9CC: 20383890
	v_cmp_u_f32_e64 s[78:79], v31, v31                         // 00000000B9D0: D048004E 00023F1F
	v_bfe_u32 v248, v31, 16, 1                                 // 00000000B9D8: D1C800F8 0205211F
	v_add3_u32 v248, v31, v248, v251                           // 00000000B9E0: D1FF00F8 07EFF11F
	v_cndmask_b32_e64 v29, v248, v250, s[78:79]                // 00000000B9E8: D100001D 013BF5F8
	v_and_or_b32 v186, v29, v249, v28                          // 00000000B9F0: D20100BA 0473F31D
	v_mov_b32_e32 v30, v222                                    // 00000000B9F8: 7E3C03DE
	v_mov_b32_e32 v31, v223                                    // 00000000B9FC: 7E3E03DF
	v_cmp_u_f32_e64 s[78:79], v30, v30                         // 00000000BA00: D048004E 00023D1E
	v_bfe_u32 v248, v30, 16, 1                                 // 00000000BA08: D1C800F8 0205211E
	v_add3_u32 v248, v30, v248, v251                           // 00000000BA10: D1FF00F8 07EFF11E
	v_cndmask_b32_e64 v28, v248, v250, s[78:79]                // 00000000BA18: D100001C 013BF5F8
	v_lshrrev_b32_e32 v28, 16, v28                             // 00000000BA20: 20383890
	v_cmp_u_f32_e64 s[78:79], v31, v31                         // 00000000BA24: D048004E 00023F1F
	v_bfe_u32 v248, v31, 16, 1                                 // 00000000BA2C: D1C800F8 0205211F
	v_add3_u32 v248, v31, v248, v251                           // 00000000BA34: D1FF00F8 07EFF11F
	v_cndmask_b32_e64 v29, v248, v250, s[78:79]                // 00000000BA3C: D100001D 013BF5F8
	v_and_or_b32 v187, v29, v249, v28                          // 00000000BA44: D20100BB 0473F31D
	v_mov_b32_e32 v30, v224                                    // 00000000BA4C: 7E3C03E0
	v_mov_b32_e32 v31, v225                                    // 00000000BA50: 7E3E03E1
	v_cmp_u_f32_e64 s[78:79], v30, v30                         // 00000000BA54: D048004E 00023D1E
	v_bfe_u32 v248, v30, 16, 1                                 // 00000000BA5C: D1C800F8 0205211E
	v_add3_u32 v248, v30, v248, v251                           // 00000000BA64: D1FF00F8 07EFF11E
	v_cndmask_b32_e64 v28, v248, v250, s[78:79]                // 00000000BA6C: D100001C 013BF5F8
	v_lshrrev_b32_e32 v28, 16, v28                             // 00000000BA74: 20383890
	v_cmp_u_f32_e64 s[78:79], v31, v31                         // 00000000BA78: D048004E 00023F1F
	v_bfe_u32 v248, v31, 16, 1                                 // 00000000BA80: D1C800F8 0205211F
	v_add3_u32 v248, v31, v248, v251                           // 00000000BA88: D1FF00F8 07EFF11F
	v_cndmask_b32_e64 v29, v248, v250, s[78:79]                // 00000000BA90: D100001D 013BF5F8
	v_and_or_b32 v188, v29, v249, v28                          // 00000000BA98: D20100BC 0473F31D
	v_mov_b32_e32 v30, v226                                    // 00000000BAA0: 7E3C03E2
	v_mov_b32_e32 v31, v227                                    // 00000000BAA4: 7E3E03E3
	v_cmp_u_f32_e64 s[78:79], v30, v30                         // 00000000BAA8: D048004E 00023D1E
	v_bfe_u32 v248, v30, 16, 1                                 // 00000000BAB0: D1C800F8 0205211E
	v_add3_u32 v248, v30, v248, v251                           // 00000000BAB8: D1FF00F8 07EFF11E
	v_cndmask_b32_e64 v28, v248, v250, s[78:79]                // 00000000BAC0: D100001C 013BF5F8
	v_lshrrev_b32_e32 v28, 16, v28                             // 00000000BAC8: 20383890
	v_cmp_u_f32_e64 s[78:79], v31, v31                         // 00000000BACC: D048004E 00023F1F
	v_bfe_u32 v248, v31, 16, 1                                 // 00000000BAD4: D1C800F8 0205211F
	v_add3_u32 v248, v31, v248, v251                           // 00000000BADC: D1FF00F8 07EFF11F
	v_cndmask_b32_e64 v29, v248, v250, s[78:79]                // 00000000BAE4: D100001D 013BF5F8
	v_and_or_b32 v189, v29, v249, v28                          // 00000000BAEC: D20100BD 0473F31D
	v_mov_b32_e32 v30, v228                                    // 00000000BAF4: 7E3C03E4
	v_mov_b32_e32 v31, v229                                    // 00000000BAF8: 7E3E03E5
	v_cmp_u_f32_e64 s[78:79], v30, v30                         // 00000000BAFC: D048004E 00023D1E
	v_bfe_u32 v248, v30, 16, 1                                 // 00000000BB04: D1C800F8 0205211E
	v_add3_u32 v248, v30, v248, v251                           // 00000000BB0C: D1FF00F8 07EFF11E
	v_cndmask_b32_e64 v28, v248, v250, s[78:79]                // 00000000BB14: D100001C 013BF5F8
	v_lshrrev_b32_e32 v28, 16, v28                             // 00000000BB1C: 20383890
	v_cmp_u_f32_e64 s[78:79], v31, v31                         // 00000000BB20: D048004E 00023F1F
	v_bfe_u32 v248, v31, 16, 1                                 // 00000000BB28: D1C800F8 0205211F
	v_add3_u32 v248, v31, v248, v251                           // 00000000BB30: D1FF00F8 07EFF11F
	v_cndmask_b32_e64 v29, v248, v250, s[78:79]                // 00000000BB38: D100001D 013BF5F8
	v_and_or_b32 v190, v29, v249, v28                          // 00000000BB40: D20100BE 0473F31D
	v_mov_b32_e32 v30, v230                                    // 00000000BB48: 7E3C03E6
	v_mov_b32_e32 v31, v231                                    // 00000000BB4C: 7E3E03E7
	v_cmp_u_f32_e64 s[78:79], v30, v30                         // 00000000BB50: D048004E 00023D1E
	v_bfe_u32 v248, v30, 16, 1                                 // 00000000BB58: D1C800F8 0205211E
	v_add3_u32 v248, v30, v248, v251                           // 00000000BB60: D1FF00F8 07EFF11E
	v_cndmask_b32_e64 v28, v248, v250, s[78:79]                // 00000000BB68: D100001C 013BF5F8
	v_lshrrev_b32_e32 v28, 16, v28                             // 00000000BB70: 20383890
	v_cmp_u_f32_e64 s[78:79], v31, v31                         // 00000000BB74: D048004E 00023F1F
	v_bfe_u32 v248, v31, 16, 1                                 // 00000000BB7C: D1C800F8 0205211F
	v_add3_u32 v248, v31, v248, v251                           // 00000000BB84: D1FF00F8 07EFF11F
	v_cndmask_b32_e64 v29, v248, v250, s[78:79]                // 00000000BB8C: D100001D 013BF5F8
	v_and_or_b32 v191, v29, v249, v28                          // 00000000BB94: D20100BF 0473F31D
	v_mov_b32_e32 v30, v232                                    // 00000000BB9C: 7E3C03E8
	v_mov_b32_e32 v31, v233                                    // 00000000BBA0: 7E3E03E9
	v_cmp_u_f32_e64 s[78:79], v30, v30                         // 00000000BBA4: D048004E 00023D1E
	v_bfe_u32 v248, v30, 16, 1                                 // 00000000BBAC: D1C800F8 0205211E
	v_add3_u32 v248, v30, v248, v251                           // 00000000BBB4: D1FF00F8 07EFF11E
	v_cndmask_b32_e64 v28, v248, v250, s[78:79]                // 00000000BBBC: D100001C 013BF5F8
	v_lshrrev_b32_e32 v28, 16, v28                             // 00000000BBC4: 20383890
	v_cmp_u_f32_e64 s[78:79], v31, v31                         // 00000000BBC8: D048004E 00023F1F
	v_bfe_u32 v248, v31, 16, 1                                 // 00000000BBD0: D1C800F8 0205211F
	v_add3_u32 v248, v31, v248, v251                           // 00000000BBD8: D1FF00F8 07EFF11F
	v_cndmask_b32_e64 v29, v248, v250, s[78:79]                // 00000000BBE0: D100001D 013BF5F8
	v_and_or_b32 v192, v29, v249, v28                          // 00000000BBE8: D20100C0 0473F31D
	v_mov_b32_e32 v30, v234                                    // 00000000BBF0: 7E3C03EA
	v_mov_b32_e32 v31, v235                                    // 00000000BBF4: 7E3E03EB
	v_cmp_u_f32_e64 s[78:79], v30, v30                         // 00000000BBF8: D048004E 00023D1E
	v_bfe_u32 v248, v30, 16, 1                                 // 00000000BC00: D1C800F8 0205211E
	v_add3_u32 v248, v30, v248, v251                           // 00000000BC08: D1FF00F8 07EFF11E
	v_cndmask_b32_e64 v28, v248, v250, s[78:79]                // 00000000BC10: D100001C 013BF5F8
	v_lshrrev_b32_e32 v28, 16, v28                             // 00000000BC18: 20383890
	v_cmp_u_f32_e64 s[78:79], v31, v31                         // 00000000BC1C: D048004E 00023F1F
	v_bfe_u32 v248, v31, 16, 1                                 // 00000000BC24: D1C800F8 0205211F
	v_add3_u32 v248, v31, v248, v251                           // 00000000BC2C: D1FF00F8 07EFF11F
	v_cndmask_b32_e64 v29, v248, v250, s[78:79]                // 00000000BC34: D100001D 013BF5F8
	v_and_or_b32 v193, v29, v249, v28                          // 00000000BC3C: D20100C1 0473F31D
	v_mov_b32_e32 v30, v236                                    // 00000000BC44: 7E3C03EC
	v_mov_b32_e32 v31, v237                                    // 00000000BC48: 7E3E03ED
	v_cmp_u_f32_e64 s[78:79], v30, v30                         // 00000000BC4C: D048004E 00023D1E
	v_bfe_u32 v248, v30, 16, 1                                 // 00000000BC54: D1C800F8 0205211E
	v_add3_u32 v248, v30, v248, v251                           // 00000000BC5C: D1FF00F8 07EFF11E
	v_cndmask_b32_e64 v28, v248, v250, s[78:79]                // 00000000BC64: D100001C 013BF5F8
	v_lshrrev_b32_e32 v28, 16, v28                             // 00000000BC6C: 20383890
	v_cmp_u_f32_e64 s[78:79], v31, v31                         // 00000000BC70: D048004E 00023F1F
	v_bfe_u32 v248, v31, 16, 1                                 // 00000000BC78: D1C800F8 0205211F
	v_add3_u32 v248, v31, v248, v251                           // 00000000BC80: D1FF00F8 07EFF11F
	v_cndmask_b32_e64 v29, v248, v250, s[78:79]                // 00000000BC88: D100001D 013BF5F8
	v_and_or_b32 v194, v29, v249, v28                          // 00000000BC90: D20100C2 0473F31D
	v_mov_b32_e32 v30, v238                                    // 00000000BC98: 7E3C03EE
	v_mov_b32_e32 v31, v239                                    // 00000000BC9C: 7E3E03EF
	v_cmp_u_f32_e64 s[78:79], v30, v30                         // 00000000BCA0: D048004E 00023D1E
	v_bfe_u32 v248, v30, 16, 1                                 // 00000000BCA8: D1C800F8 0205211E
	v_add3_u32 v248, v30, v248, v251                           // 00000000BCB0: D1FF00F8 07EFF11E
	v_cndmask_b32_e64 v28, v248, v250, s[78:79]                // 00000000BCB8: D100001C 013BF5F8
	v_lshrrev_b32_e32 v28, 16, v28                             // 00000000BCC0: 20383890
	v_cmp_u_f32_e64 s[78:79], v31, v31                         // 00000000BCC4: D048004E 00023F1F
	v_bfe_u32 v248, v31, 16, 1                                 // 00000000BCCC: D1C800F8 0205211F
	v_add3_u32 v248, v31, v248, v251                           // 00000000BCD4: D1FF00F8 07EFF11F
	v_cndmask_b32_e64 v29, v248, v250, s[78:79]                // 00000000BCDC: D100001D 013BF5F8
	v_and_or_b32 v195, v29, v249, v28                          // 00000000BCE4: D20100C3 0473F31D
	v_mov_b32_e32 v30, v240                                    // 00000000BCEC: 7E3C03F0
	v_mov_b32_e32 v31, v241                                    // 00000000BCF0: 7E3E03F1
	v_cmp_u_f32_e64 s[78:79], v30, v30                         // 00000000BCF4: D048004E 00023D1E
	v_bfe_u32 v248, v30, 16, 1                                 // 00000000BCFC: D1C800F8 0205211E
	v_add3_u32 v248, v30, v248, v251                           // 00000000BD04: D1FF00F8 07EFF11E
	v_cndmask_b32_e64 v28, v248, v250, s[78:79]                // 00000000BD0C: D100001C 013BF5F8
	v_lshrrev_b32_e32 v28, 16, v28                             // 00000000BD14: 20383890
	v_cmp_u_f32_e64 s[78:79], v31, v31                         // 00000000BD18: D048004E 00023F1F
	v_bfe_u32 v248, v31, 16, 1                                 // 00000000BD20: D1C800F8 0205211F
	v_add3_u32 v248, v31, v248, v251                           // 00000000BD28: D1FF00F8 07EFF11F
	v_cndmask_b32_e64 v29, v248, v250, s[78:79]                // 00000000BD30: D100001D 013BF5F8
	v_and_or_b32 v196, v29, v249, v28                          // 00000000BD38: D20100C4 0473F31D
	v_mov_b32_e32 v30, v242                                    // 00000000BD40: 7E3C03F2
	v_mov_b32_e32 v31, v243                                    // 00000000BD44: 7E3E03F3
	v_cmp_u_f32_e64 s[78:79], v30, v30                         // 00000000BD48: D048004E 00023D1E
	v_bfe_u32 v248, v30, 16, 1                                 // 00000000BD50: D1C800F8 0205211E
	v_add3_u32 v248, v30, v248, v251                           // 00000000BD58: D1FF00F8 07EFF11E
	v_cndmask_b32_e64 v28, v248, v250, s[78:79]                // 00000000BD60: D100001C 013BF5F8
	v_lshrrev_b32_e32 v28, 16, v28                             // 00000000BD68: 20383890
	v_cmp_u_f32_e64 s[78:79], v31, v31                         // 00000000BD6C: D048004E 00023F1F
	v_bfe_u32 v248, v31, 16, 1                                 // 00000000BD74: D1C800F8 0205211F
	v_add3_u32 v248, v31, v248, v251                           // 00000000BD7C: D1FF00F8 07EFF11F
	v_cndmask_b32_e64 v29, v248, v250, s[78:79]                // 00000000BD84: D100001D 013BF5F8
	v_and_or_b32 v197, v29, v249, v28                          // 00000000BD8C: D20100C5 0473F31D
	v_mov_b32_e32 v30, v244                                    // 00000000BD94: 7E3C03F4
	v_mov_b32_e32 v31, v245                                    // 00000000BD98: 7E3E03F5
	v_cmp_u_f32_e64 s[78:79], v30, v30                         // 00000000BD9C: D048004E 00023D1E
	v_bfe_u32 v248, v30, 16, 1                                 // 00000000BDA4: D1C800F8 0205211E
	v_add3_u32 v248, v30, v248, v251                           // 00000000BDAC: D1FF00F8 07EFF11E
	v_cndmask_b32_e64 v28, v248, v250, s[78:79]                // 00000000BDB4: D100001C 013BF5F8
	v_lshrrev_b32_e32 v28, 16, v28                             // 00000000BDBC: 20383890
	v_cmp_u_f32_e64 s[78:79], v31, v31                         // 00000000BDC0: D048004E 00023F1F
	v_bfe_u32 v248, v31, 16, 1                                 // 00000000BDC8: D1C800F8 0205211F
	v_add3_u32 v248, v31, v248, v251                           // 00000000BDD0: D1FF00F8 07EFF11F
	v_cndmask_b32_e64 v29, v248, v250, s[78:79]                // 00000000BDD8: D100001D 013BF5F8
	v_and_or_b32 v198, v29, v249, v28                          // 00000000BDE0: D20100C6 0473F31D
	v_mov_b32_e32 v30, v246                                    // 00000000BDE8: 7E3C03F6
	v_mov_b32_e32 v31, v247                                    // 00000000BDEC: 7E3E03F7
	v_cmp_u_f32_e64 s[78:79], v30, v30                         // 00000000BDF0: D048004E 00023D1E
	v_bfe_u32 v248, v30, 16, 1                                 // 00000000BDF8: D1C800F8 0205211E
	v_add3_u32 v248, v30, v248, v251                           // 00000000BE00: D1FF00F8 07EFF11E
	v_cndmask_b32_e64 v28, v248, v250, s[78:79]                // 00000000BE08: D100001C 013BF5F8
	v_lshrrev_b32_e32 v28, 16, v28                             // 00000000BE10: 20383890
	v_cmp_u_f32_e64 s[78:79], v31, v31                         // 00000000BE14: D048004E 00023F1F
	v_bfe_u32 v248, v31, 16, 1                                 // 00000000BE1C: D1C800F8 0205211F
	v_add3_u32 v248, v31, v248, v251                           // 00000000BE24: D1FF00F8 07EFF11F
	v_cndmask_b32_e64 v29, v248, v250, s[78:79]                // 00000000BE2C: D100001D 013BF5F8
	v_and_or_b32 v199, v29, v249, v28                          // 00000000BE34: D20100C7 0473F31D
	ds_write_b64 v25, v[184:185] offset:33792                  // 00000000BE3C: D89A8400 0000B819
	ds_write_b64 v25, v[186:187] offset:34320                  // 00000000BE44: D89A8610 0000BA19
	ds_write_b64 v25, v[188:189] offset:34848                  // 00000000BE4C: D89A8820 0000BC19
	ds_write_b64 v25, v[190:191] offset:35376                  // 00000000BE54: D89A8A30 0000BE19
	ds_write_b64 v25, v[192:193] offset:35904                  // 00000000BE5C: D89A8C40 0000C019
	ds_write_b64 v25, v[194:195] offset:36432                  // 00000000BE64: D89A8E50 0000C219
	ds_write_b64 v25, v[196:197] offset:36960                  // 00000000BE6C: D89A9060 0000C419
	ds_write_b64 v25, v[198:199] offset:37488                  // 00000000BE74: D89A9270 0000C619
	s_waitcnt lgkmcnt(0)                                       // 00000000BE7C: BF8CC07F
	s_barrier                                                  // 00000000BE80: BF8A0000
	ds_read_b64 v[184:185], v24 offset:33792                   // 00000000BE84: D8EC8400 B8000018
	ds_read_b64 v[186:187], v24 offset:33920                   // 00000000BE8C: D8EC8480 BA000018
	ds_read_b64 v[188:189], v24 offset:33824                   // 00000000BE94: D8EC8420 BC000018
	ds_read_b64 v[190:191], v24 offset:33952                   // 00000000BE9C: D8EC84A0 BE000018
	ds_read_b64 v[192:193], v24 offset:33856                   // 00000000BEA4: D8EC8440 C0000018
	ds_read_b64 v[194:195], v24 offset:33984                   // 00000000BEAC: D8EC84C0 C2000018
	ds_read_b64 v[196:197], v24 offset:33888                   // 00000000BEB4: D8EC8460 C4000018
	ds_read_b64 v[198:199], v24 offset:34016                   // 00000000BEBC: D8EC84E0 C6000018
	s_waitcnt lgkmcnt(0)                                       // 00000000BEC4: BF8CC07F
	s_mov_b32 s70, s53                                         // 00000000BEC8: BEC60035
	buffer_store_dwordx4 v[184:187], v6, s[40:43], 0 idxen     // 00000000BECC: E07C2000 800AB806
	v_add_u32_e32 v6, s70, v6                                  // 00000000BED4: 680C0C46
	buffer_store_dwordx4 v[188:191], v6, s[40:43], 0 idxen     // 00000000BED8: E07C2000 800ABC06
	v_add_u32_e32 v6, s70, v6                                  // 00000000BEE0: 680C0C46
	buffer_store_dwordx4 v[192:195], v6, s[40:43], 0 idxen     // 00000000BEE4: E07C2000 800AC006
	v_add_u32_e32 v6, s70, v6                                  // 00000000BEEC: 680C0C46
	buffer_store_dwordx4 v[196:199], v6, s[40:43], 0 idxen     // 00000000BEF0: E07C2000 800AC406
	v_add_u32_e32 v6, s70, v6                                  // 00000000BEF8: 680C0C46
	s_mul_i32 s60, 12, s70                                     // 00000000BEFC: 923C468C
	v_add_u32_e32 v6, s60, v6                                  // 00000000BF00: 680C0C3C
	s_cmp_ge_i32 3, s72                                        // 00000000BF04: BF034883
	s_cbranch_scc1 label_2057                                  // 00000000BF08: BF850000

000000000000bf0c <label_2057>:
	s_waitcnt vmcnt(0) expcnt(0) lgkmcnt(0)                    // 00000000BF0C: BF8C0000
	s_sub_i32 s60, s77, 1                                      // 00000000BF10: 81BC814D
	s_sub_i32 s2, s60, s2                                      // 00000000BF14: 8182023C
	s_addk_i32 s75, 0x1                                        // 00000000BF18: B74B0001
	s_cmp_lt_i32 s75, s76                                      // 00000000BF1C: BF044C4B
	s_cbranch_scc1 label_0163                                  // 00000000BF20: BF85E11A

000000000000bf24 <label_205D>:
	s_waitcnt vmcnt(0) expcnt(0) lgkmcnt(0)                    // 00000000BF24: BF8C0000
	s_endpgm                                                   // 00000000BF28: BF810000
